;; amdgpu-corpus repo=ROCm/rocFFT kind=compiled arch=gfx906 opt=O3
	.text
	.amdgcn_target "amdgcn-amd-amdhsa--gfx906"
	.amdhsa_code_object_version 6
	.protected	fft_rtc_back_len3240_factors_3_3_10_6_6_wgs_108_tpt_108_halfLds_dp_ip_CI_sbrr_dirReg ; -- Begin function fft_rtc_back_len3240_factors_3_3_10_6_6_wgs_108_tpt_108_halfLds_dp_ip_CI_sbrr_dirReg
	.globl	fft_rtc_back_len3240_factors_3_3_10_6_6_wgs_108_tpt_108_halfLds_dp_ip_CI_sbrr_dirReg
	.p2align	8
	.type	fft_rtc_back_len3240_factors_3_3_10_6_6_wgs_108_tpt_108_halfLds_dp_ip_CI_sbrr_dirReg,@function
fft_rtc_back_len3240_factors_3_3_10_6_6_wgs_108_tpt_108_halfLds_dp_ip_CI_sbrr_dirReg: ; @fft_rtc_back_len3240_factors_3_3_10_6_6_wgs_108_tpt_108_halfLds_dp_ip_CI_sbrr_dirReg
; %bb.0:
	s_load_dwordx2 s[14:15], s[4:5], 0x18
	s_load_dwordx4 s[8:11], s[4:5], 0x0
	s_load_dwordx2 s[12:13], s[4:5], 0x50
	v_mul_u32_u24_e32 v1, 0x25f, v0
	v_add_u32_sdwa v5, s6, v1 dst_sel:DWORD dst_unused:UNUSED_PAD src0_sel:DWORD src1_sel:WORD_1
	s_waitcnt lgkmcnt(0)
	s_load_dwordx2 s[2:3], s[14:15], 0x0
	v_cmp_lt_u64_e64 s[0:1], s[10:11], 2
	v_mov_b32_e32 v3, 0
	v_mov_b32_e32 v1, 0
	;; [unrolled: 1-line block ×3, first 2 shown]
	s_and_b64 vcc, exec, s[0:1]
	v_mov_b32_e32 v2, 0
	s_cbranch_vccnz .LBB0_8
; %bb.1:
	s_load_dwordx2 s[0:1], s[4:5], 0x10
	s_add_u32 s6, s14, 8
	s_addc_u32 s7, s15, 0
	v_mov_b32_e32 v1, 0
	v_mov_b32_e32 v2, 0
	s_waitcnt lgkmcnt(0)
	s_add_u32 s16, s0, 8
	s_addc_u32 s17, s1, 0
	s_mov_b64 s[18:19], 1
.LBB0_2:                                ; =>This Inner Loop Header: Depth=1
	s_load_dwordx2 s[20:21], s[16:17], 0x0
                                        ; implicit-def: $vgpr7_vgpr8
	s_waitcnt lgkmcnt(0)
	v_or_b32_e32 v4, s21, v6
	v_cmp_ne_u64_e32 vcc, 0, v[3:4]
	s_and_saveexec_b64 s[0:1], vcc
	s_xor_b64 s[22:23], exec, s[0:1]
	s_cbranch_execz .LBB0_4
; %bb.3:                                ;   in Loop: Header=BB0_2 Depth=1
	v_cvt_f32_u32_e32 v4, s20
	v_cvt_f32_u32_e32 v7, s21
	s_sub_u32 s0, 0, s20
	s_subb_u32 s1, 0, s21
	v_mac_f32_e32 v4, 0x4f800000, v7
	v_rcp_f32_e32 v4, v4
	v_mul_f32_e32 v4, 0x5f7ffffc, v4
	v_mul_f32_e32 v7, 0x2f800000, v4
	v_trunc_f32_e32 v7, v7
	v_mac_f32_e32 v4, 0xcf800000, v7
	v_cvt_u32_f32_e32 v7, v7
	v_cvt_u32_f32_e32 v4, v4
	v_mul_lo_u32 v8, s0, v7
	v_mul_hi_u32 v9, s0, v4
	v_mul_lo_u32 v11, s1, v4
	v_mul_lo_u32 v10, s0, v4
	v_add_u32_e32 v8, v9, v8
	v_add_u32_e32 v8, v8, v11
	v_mul_hi_u32 v9, v4, v10
	v_mul_lo_u32 v11, v4, v8
	v_mul_hi_u32 v13, v4, v8
	v_mul_hi_u32 v12, v7, v10
	v_mul_lo_u32 v10, v7, v10
	v_mul_hi_u32 v14, v7, v8
	v_add_co_u32_e32 v9, vcc, v9, v11
	v_addc_co_u32_e32 v11, vcc, 0, v13, vcc
	v_mul_lo_u32 v8, v7, v8
	v_add_co_u32_e32 v9, vcc, v9, v10
	v_addc_co_u32_e32 v9, vcc, v11, v12, vcc
	v_addc_co_u32_e32 v10, vcc, 0, v14, vcc
	v_add_co_u32_e32 v8, vcc, v9, v8
	v_addc_co_u32_e32 v9, vcc, 0, v10, vcc
	v_add_co_u32_e32 v4, vcc, v4, v8
	v_addc_co_u32_e32 v7, vcc, v7, v9, vcc
	v_mul_lo_u32 v8, s0, v7
	v_mul_hi_u32 v9, s0, v4
	v_mul_lo_u32 v10, s1, v4
	v_mul_lo_u32 v11, s0, v4
	v_add_u32_e32 v8, v9, v8
	v_add_u32_e32 v8, v8, v10
	v_mul_lo_u32 v12, v4, v8
	v_mul_hi_u32 v13, v4, v11
	v_mul_hi_u32 v14, v4, v8
	;; [unrolled: 1-line block ×3, first 2 shown]
	v_mul_lo_u32 v11, v7, v11
	v_mul_hi_u32 v9, v7, v8
	v_add_co_u32_e32 v12, vcc, v13, v12
	v_addc_co_u32_e32 v13, vcc, 0, v14, vcc
	v_mul_lo_u32 v8, v7, v8
	v_add_co_u32_e32 v11, vcc, v12, v11
	v_addc_co_u32_e32 v10, vcc, v13, v10, vcc
	v_addc_co_u32_e32 v9, vcc, 0, v9, vcc
	v_add_co_u32_e32 v8, vcc, v10, v8
	v_addc_co_u32_e32 v9, vcc, 0, v9, vcc
	v_add_co_u32_e32 v4, vcc, v4, v8
	v_addc_co_u32_e32 v9, vcc, v7, v9, vcc
	v_mad_u64_u32 v[7:8], s[0:1], v5, v9, 0
	v_mul_hi_u32 v10, v5, v4
	v_add_co_u32_e32 v11, vcc, v10, v7
	v_addc_co_u32_e32 v12, vcc, 0, v8, vcc
	v_mad_u64_u32 v[7:8], s[0:1], v6, v4, 0
	v_mad_u64_u32 v[9:10], s[0:1], v6, v9, 0
	v_add_co_u32_e32 v4, vcc, v11, v7
	v_addc_co_u32_e32 v4, vcc, v12, v8, vcc
	v_addc_co_u32_e32 v7, vcc, 0, v10, vcc
	v_add_co_u32_e32 v4, vcc, v4, v9
	v_addc_co_u32_e32 v9, vcc, 0, v7, vcc
	v_mul_lo_u32 v10, s21, v4
	v_mul_lo_u32 v11, s20, v9
	v_mad_u64_u32 v[7:8], s[0:1], s20, v4, 0
	v_add3_u32 v8, v8, v11, v10
	v_sub_u32_e32 v10, v6, v8
	v_mov_b32_e32 v11, s21
	v_sub_co_u32_e32 v7, vcc, v5, v7
	v_subb_co_u32_e64 v10, s[0:1], v10, v11, vcc
	v_subrev_co_u32_e64 v11, s[0:1], s20, v7
	v_subbrev_co_u32_e64 v10, s[0:1], 0, v10, s[0:1]
	v_cmp_le_u32_e64 s[0:1], s21, v10
	v_cndmask_b32_e64 v12, 0, -1, s[0:1]
	v_cmp_le_u32_e64 s[0:1], s20, v11
	v_cndmask_b32_e64 v11, 0, -1, s[0:1]
	v_cmp_eq_u32_e64 s[0:1], s21, v10
	v_cndmask_b32_e64 v10, v12, v11, s[0:1]
	v_add_co_u32_e64 v11, s[0:1], 2, v4
	v_addc_co_u32_e64 v12, s[0:1], 0, v9, s[0:1]
	v_add_co_u32_e64 v13, s[0:1], 1, v4
	v_addc_co_u32_e64 v14, s[0:1], 0, v9, s[0:1]
	v_subb_co_u32_e32 v8, vcc, v6, v8, vcc
	v_cmp_ne_u32_e64 s[0:1], 0, v10
	v_cmp_le_u32_e32 vcc, s21, v8
	v_cndmask_b32_e64 v10, v14, v12, s[0:1]
	v_cndmask_b32_e64 v12, 0, -1, vcc
	v_cmp_le_u32_e32 vcc, s20, v7
	v_cndmask_b32_e64 v7, 0, -1, vcc
	v_cmp_eq_u32_e32 vcc, s21, v8
	v_cndmask_b32_e32 v7, v12, v7, vcc
	v_cmp_ne_u32_e32 vcc, 0, v7
	v_cndmask_b32_e64 v7, v13, v11, s[0:1]
	v_cndmask_b32_e32 v8, v9, v10, vcc
	v_cndmask_b32_e32 v7, v4, v7, vcc
.LBB0_4:                                ;   in Loop: Header=BB0_2 Depth=1
	s_andn2_saveexec_b64 s[0:1], s[22:23]
	s_cbranch_execz .LBB0_6
; %bb.5:                                ;   in Loop: Header=BB0_2 Depth=1
	v_cvt_f32_u32_e32 v4, s20
	s_sub_i32 s22, 0, s20
	v_rcp_iflag_f32_e32 v4, v4
	v_mul_f32_e32 v4, 0x4f7ffffe, v4
	v_cvt_u32_f32_e32 v4, v4
	v_mul_lo_u32 v7, s22, v4
	v_mul_hi_u32 v7, v4, v7
	v_add_u32_e32 v4, v4, v7
	v_mul_hi_u32 v4, v5, v4
	v_mul_lo_u32 v7, v4, s20
	v_add_u32_e32 v8, 1, v4
	v_sub_u32_e32 v7, v5, v7
	v_subrev_u32_e32 v9, s20, v7
	v_cmp_le_u32_e32 vcc, s20, v7
	v_cndmask_b32_e32 v7, v7, v9, vcc
	v_cndmask_b32_e32 v4, v4, v8, vcc
	v_add_u32_e32 v8, 1, v4
	v_cmp_le_u32_e32 vcc, s20, v7
	v_cndmask_b32_e32 v7, v4, v8, vcc
	v_mov_b32_e32 v8, v3
.LBB0_6:                                ;   in Loop: Header=BB0_2 Depth=1
	s_or_b64 exec, exec, s[0:1]
	v_mul_lo_u32 v4, v8, s20
	v_mul_lo_u32 v11, v7, s21
	v_mad_u64_u32 v[9:10], s[0:1], v7, s20, 0
	s_load_dwordx2 s[0:1], s[6:7], 0x0
	s_add_u32 s18, s18, 1
	v_add3_u32 v4, v10, v11, v4
	v_sub_co_u32_e32 v5, vcc, v5, v9
	v_subb_co_u32_e32 v4, vcc, v6, v4, vcc
	s_waitcnt lgkmcnt(0)
	v_mul_lo_u32 v4, s0, v4
	v_mul_lo_u32 v6, s1, v5
	v_mad_u64_u32 v[1:2], s[0:1], s0, v5, v[1:2]
	s_addc_u32 s19, s19, 0
	s_add_u32 s6, s6, 8
	v_add3_u32 v2, v6, v2, v4
	v_mov_b32_e32 v4, s10
	v_mov_b32_e32 v5, s11
	s_addc_u32 s7, s7, 0
	v_cmp_ge_u64_e32 vcc, s[18:19], v[4:5]
	s_add_u32 s16, s16, 8
	s_addc_u32 s17, s17, 0
	s_cbranch_vccnz .LBB0_9
; %bb.7:                                ;   in Loop: Header=BB0_2 Depth=1
	v_mov_b32_e32 v5, v7
	v_mov_b32_e32 v6, v8
	s_branch .LBB0_2
.LBB0_8:
	v_mov_b32_e32 v8, v6
	v_mov_b32_e32 v7, v5
.LBB0_9:
	s_lshl_b64 s[0:1], s[10:11], 3
	s_add_u32 s0, s14, s0
	s_addc_u32 s1, s15, s1
	s_load_dwordx2 s[6:7], s[0:1], 0x0
	s_load_dwordx2 s[10:11], s[4:5], 0x20
                                        ; implicit-def: $vgpr123
                                        ; implicit-def: $vgpr124
                                        ; implicit-def: $vgpr125
                                        ; implicit-def: $vgpr126
                                        ; implicit-def: $vgpr131
                                        ; implicit-def: $vgpr133
                                        ; implicit-def: $vgpr134
                                        ; implicit-def: $vgpr135
                                        ; implicit-def: $vgpr136
	s_waitcnt lgkmcnt(0)
	v_mad_u64_u32 v[1:2], s[0:1], s6, v7, v[1:2]
	s_mov_b32 s0, 0x25ed098
	v_mul_lo_u32 v3, s6, v8
	v_mul_lo_u32 v4, s7, v7
	v_mul_hi_u32 v5, v0, s0
	v_cmp_gt_u64_e32 vcc, s[10:11], v[7:8]
	v_cmp_le_u64_e64 s[0:1], s[10:11], v[7:8]
	v_add3_u32 v2, v4, v2, v3
	v_mul_u32_u24_e32 v3, 0x6c, v5
	v_sub_u32_e32 v122, v0, v3
	s_and_saveexec_b64 s[4:5], s[0:1]
	s_xor_b64 s[0:1], exec, s[4:5]
; %bb.10:
	v_add_u32_e32 v123, 0x6c, v122
	v_add_u32_e32 v124, 0xd8, v122
	v_add_u32_e32 v125, 0x144, v122
	v_add_u32_e32 v126, 0x1b0, v122
	v_add_u32_e32 v131, 0x21c, v122
	v_add_u32_e32 v133, 0x288, v122
	v_add_u32_e32 v134, 0x2f4, v122
	v_add_u32_e32 v135, 0x360, v122
	v_add_u32_e32 v136, 0x3cc, v122
; %bb.11:
	s_or_saveexec_b64 s[4:5], s[0:1]
	v_lshlrev_b64 v[120:121], 4, v[1:2]
                                        ; implicit-def: $vgpr2_vgpr3
                                        ; implicit-def: $vgpr10_vgpr11
                                        ; implicit-def: $vgpr14_vgpr15
                                        ; implicit-def: $vgpr6_vgpr7
                                        ; implicit-def: $vgpr18_vgpr19
                                        ; implicit-def: $vgpr22_vgpr23
                                        ; implicit-def: $vgpr26_vgpr27
                                        ; implicit-def: $vgpr30_vgpr31
                                        ; implicit-def: $vgpr34_vgpr35
                                        ; implicit-def: $vgpr38_vgpr39
                                        ; implicit-def: $vgpr42_vgpr43
                                        ; implicit-def: $vgpr46_vgpr47
                                        ; implicit-def: $vgpr50_vgpr51
                                        ; implicit-def: $vgpr54_vgpr55
                                        ; implicit-def: $vgpr58_vgpr59
                                        ; implicit-def: $vgpr62_vgpr63
                                        ; implicit-def: $vgpr66_vgpr67
                                        ; implicit-def: $vgpr70_vgpr71
                                        ; implicit-def: $vgpr74_vgpr75
                                        ; implicit-def: $vgpr78_vgpr79
                                        ; implicit-def: $vgpr82_vgpr83
                                        ; implicit-def: $vgpr86_vgpr87
                                        ; implicit-def: $vgpr90_vgpr91
                                        ; implicit-def: $vgpr94_vgpr95
                                        ; implicit-def: $vgpr98_vgpr99
                                        ; implicit-def: $vgpr102_vgpr103
                                        ; implicit-def: $vgpr106_vgpr107
                                        ; implicit-def: $vgpr114_vgpr115
                                        ; implicit-def: $vgpr118_vgpr119
                                        ; implicit-def: $vgpr110_vgpr111
	s_xor_b64 exec, exec, s[4:5]
	s_cbranch_execz .LBB0_13
; %bb.12:
	v_mad_u64_u32 v[0:1], s[0:1], s2, v122, 0
	v_add_u32_e32 v5, 0x438, v122
	v_mov_b32_e32 v4, s13
	v_mad_u64_u32 v[1:2], s[0:1], s3, v122, v[1:2]
	v_mad_u64_u32 v[2:3], s[0:1], s2, v5, 0
	v_add_co_u32_e64 v18, s[0:1], s12, v120
	v_addc_co_u32_e64 v19, s[0:1], v4, v121, s[0:1]
	v_mad_u64_u32 v[3:4], s[0:1], s3, v5, v[3:4]
	v_add_u32_e32 v5, 0x870, v122
	v_mad_u64_u32 v[6:7], s[0:1], s2, v5, 0
	v_lshlrev_b64 v[0:1], 4, v[0:1]
	v_add_u32_e32 v123, 0x6c, v122
	v_add_co_u32_e64 v0, s[0:1], v18, v0
	v_mov_b32_e32 v4, v7
	v_addc_co_u32_e64 v1, s[0:1], v19, v1, s[0:1]
	v_mad_u64_u32 v[7:8], s[0:1], s3, v5, v[4:5]
	v_mad_u64_u32 v[8:9], s[0:1], s2, v123, 0
	v_lshlrev_b64 v[2:3], 4, v[2:3]
	v_add_u32_e32 v12, 0x4a4, v122
	v_add_co_u32_e64 v4, s[0:1], v18, v2
	v_addc_co_u32_e64 v5, s[0:1], v19, v3, s[0:1]
	v_lshlrev_b64 v[2:3], 4, v[6:7]
	v_mov_b32_e32 v6, v9
	v_mad_u64_u32 v[6:7], s[0:1], s3, v123, v[6:7]
	v_mad_u64_u32 v[10:11], s[0:1], s2, v12, 0
	v_mov_b32_e32 v9, v6
	v_add_co_u32_e64 v2, s[0:1], v18, v2
	v_lshlrev_b64 v[6:7], 4, v[8:9]
	v_mov_b32_e32 v8, v11
	v_addc_co_u32_e64 v3, s[0:1], v19, v3, s[0:1]
	v_mad_u64_u32 v[8:9], s[0:1], s3, v12, v[8:9]
	v_add_u32_e32 v14, 0x8dc, v122
	v_mad_u64_u32 v[12:13], s[0:1], s2, v14, 0
	v_mov_b32_e32 v11, v8
	v_add_co_u32_e64 v6, s[0:1], v18, v6
	v_lshlrev_b64 v[8:9], 4, v[10:11]
	v_mov_b32_e32 v10, v13
	v_addc_co_u32_e64 v7, s[0:1], v19, v7, s[0:1]
	v_mad_u64_u32 v[10:11], s[0:1], s3, v14, v[10:11]
	v_add_u32_e32 v124, 0xd8, v122
	;; [unrolled: 8-line block ×15, first 2 shown]
	v_mad_u64_u32 v[42:43], s[0:1], s2, v39, 0
	v_add_co_u32_e64 v127, s[0:1], v18, v36
	v_mov_b32_e32 v41, v38
	v_mov_b32_e32 v38, v43
	v_addc_co_u32_e64 v128, s[0:1], v19, v37, s[0:1]
	v_lshlrev_b64 v[36:37], 4, v[40:41]
	v_mad_u64_u32 v[38:39], s[0:1], s3, v39, v[38:39]
	v_add_u32_e32 v41, 0xaf8, v122
	v_mad_u64_u32 v[39:40], s[0:1], s2, v41, 0
	v_add_co_u32_e64 v129, s[0:1], v18, v36
	v_mov_b32_e32 v43, v38
	v_mov_b32_e32 v38, v40
	v_addc_co_u32_e64 v130, s[0:1], v19, v37, s[0:1]
	v_mad_u64_u32 v[40:41], s[0:1], s3, v41, v[38:39]
	v_add_u32_e32 v134, 0x2f4, v122
	v_lshlrev_b64 v[36:37], 4, v[42:43]
	v_mad_u64_u32 v[41:42], s[0:1], s2, v134, 0
	v_add_co_u32_e64 v137, s[0:1], v18, v36
	v_mov_b32_e32 v38, v42
	v_addc_co_u32_e64 v138, s[0:1], v19, v37, s[0:1]
	v_lshlrev_b64 v[36:37], 4, v[39:40]
	v_mad_u64_u32 v[38:39], s[0:1], s3, v134, v[38:39]
	v_add_u32_e32 v43, 0x72c, v122
	v_mad_u64_u32 v[39:40], s[0:1], s2, v43, 0
	v_add_co_u32_e64 v139, s[0:1], v18, v36
	v_mov_b32_e32 v42, v38
	v_mov_b32_e32 v38, v40
	v_addc_co_u32_e64 v140, s[0:1], v19, v37, s[0:1]
	v_lshlrev_b64 v[36:37], 4, v[41:42]
	v_mad_u64_u32 v[40:41], s[0:1], s3, v43, v[38:39]
	v_add_u32_e32 v43, 0xb64, v122
	v_mad_u64_u32 v[41:42], s[0:1], s2, v43, 0
	v_add_co_u32_e64 v141, s[0:1], v18, v36
	v_mov_b32_e32 v38, v42
	v_addc_co_u32_e64 v142, s[0:1], v19, v37, s[0:1]
	v_lshlrev_b64 v[36:37], 4, v[39:40]
	v_mad_u64_u32 v[38:39], s[0:1], s3, v43, v[38:39]
	v_add_u32_e32 v135, 0x360, v122
	v_mad_u64_u32 v[39:40], s[0:1], s2, v135, 0
	v_add_co_u32_e64 v143, s[0:1], v18, v36
	v_mov_b32_e32 v42, v38
	v_mov_b32_e32 v38, v40
	v_addc_co_u32_e64 v144, s[0:1], v19, v37, s[0:1]
	v_lshlrev_b64 v[36:37], 4, v[41:42]
	v_mad_u64_u32 v[40:41], s[0:1], s3, v135, v[38:39]
	v_add_u32_e32 v43, 0x798, v122
	;; [unrolled: 15-line block ×4, first 2 shown]
	v_mad_u64_u32 v[41:42], s[0:1], s2, v43, 0
	v_add_co_u32_e64 v153, s[0:1], v18, v36
	v_mov_b32_e32 v38, v42
	v_addc_co_u32_e64 v154, s[0:1], v19, v37, s[0:1]
	v_lshlrev_b64 v[36:37], 4, v[39:40]
	v_mad_u64_u32 v[38:39], s[0:1], s3, v43, v[38:39]
	v_add_co_u32_e64 v155, s[0:1], v18, v36
	v_mov_b32_e32 v42, v38
	global_load_dwordx4 v[108:111], v[0:1], off
	global_load_dwordx4 v[116:119], v[4:5], off
	v_lshlrev_b64 v[0:1], 4, v[41:42]
	v_addc_co_u32_e64 v156, s[0:1], v19, v37, s[0:1]
	v_add_co_u32_e64 v0, s[0:1], v18, v0
	v_addc_co_u32_e64 v1, s[0:1], v19, v1, s[0:1]
	global_load_dwordx4 v[112:115], v[2:3], off
	global_load_dwordx4 v[104:107], v[6:7], off
	;; [unrolled: 1-line block ×13, first 2 shown]
                                        ; kill: killed $vgpr26 killed $vgpr27
                                        ; kill: killed $vgpr20 killed $vgpr21
                                        ; kill: killed $vgpr12 killed $vgpr13
                                        ; kill: killed $vgpr28 killed $vgpr29
                                        ; kill: killed $vgpr6 killed $vgpr7
                                        ; kill: killed $vgpr22 killed $vgpr23
                                        ; kill: killed $vgpr14 killed $vgpr15
                                        ; kill: killed $vgpr30 killed $vgpr31
                                        ; kill: killed $vgpr8 killed $vgpr9
                                        ; kill: killed $vgpr24 killed $vgpr25
                                        ; kill: killed $vgpr16 killed $vgpr17
                                        ; kill: killed $vgpr10 killed $vgpr11
                                        ; kill: killed $vgpr2 killed $vgpr3
	global_load_dwordx4 v[56:59], v[32:33], off
	global_load_dwordx4 v[52:55], v[34:35], off
	;; [unrolled: 1-line block ×6, first 2 shown]
                                        ; kill: killed $vgpr129 killed $vgpr130
                                        ; kill: killed $vgpr32 killed $vgpr33
                                        ; kill: killed $vgpr137 killed $vgpr138
                                        ; kill: killed $vgpr34 killed $vgpr35
                                        ; kill: killed $vgpr139 killed $vgpr140
                                        ; kill: killed $vgpr127 killed $vgpr128
	s_nop 0
	global_load_dwordx4 v[32:35], v[141:142], off
	global_load_dwordx4 v[28:31], v[143:144], off
	;; [unrolled: 1-line block ×3, first 2 shown]
                                        ; kill: killed $vgpr141 killed $vgpr142
                                        ; kill: killed $vgpr143 killed $vgpr144
                                        ; kill: killed $vgpr145 killed $vgpr146
	global_load_dwordx4 v[20:23], v[147:148], off
	global_load_dwordx4 v[16:19], v[149:150], off
                                        ; kill: killed $vgpr147 killed $vgpr148
                                        ; kill: killed $vgpr149 killed $vgpr150
	global_load_dwordx4 v[4:7], v[151:152], off
	global_load_dwordx4 v[12:15], v[153:154], off
	global_load_dwordx4 v[8:11], v[155:156], off
	s_nop 0
	global_load_dwordx4 v[0:3], v[0:1], off
.LBB0_13:
	s_or_b64 exec, exec, s[4:5]
	s_waitcnt vmcnt(27)
	v_add_f64 v[127:128], v[112:113], v[116:117]
	v_add_f64 v[129:130], v[116:117], v[108:109]
	v_add_f64 v[137:138], v[118:119], -v[114:115]
	v_add_f64 v[139:140], v[114:115], v[118:119]
	v_add_f64 v[118:119], v[118:119], v[110:111]
	s_mov_b32 s4, 0xe8584caa
	s_mov_b32 s5, 0xbfebb67a
	;; [unrolled: 1-line block ×3, first 2 shown]
	v_fma_f64 v[108:109], v[127:128], -0.5, v[108:109]
	s_mov_b32 s6, s4
	v_add_f64 v[116:117], v[116:117], -v[112:113]
	s_waitcnt vmcnt(25)
	v_add_f64 v[127:128], v[100:101], v[104:105]
	s_waitcnt vmcnt(24)
	v_add_f64 v[141:142], v[96:97], v[100:101]
	v_fma_f64 v[110:111], v[139:140], -0.5, v[110:111]
	v_add_f64 v[112:113], v[112:113], v[129:130]
	v_mad_u32_u24 v132, v122, 24, 0
	v_fma_f64 v[129:130], v[137:138], s[4:5], v[108:109]
	v_fma_f64 v[108:109], v[137:138], s[6:7], v[108:109]
	v_add_f64 v[137:138], v[114:115], v[118:119]
	v_add_f64 v[114:115], v[98:99], v[102:103]
	v_add_f64 v[118:119], v[102:103], -v[98:99]
	v_add_f64 v[102:103], v[102:103], v[106:107]
	v_fma_f64 v[104:105], v[141:142], -0.5, v[104:105]
	v_fma_f64 v[139:140], v[116:117], s[6:7], v[110:111]
	v_fma_f64 v[141:142], v[116:117], s[4:5], v[110:111]
	v_add_f64 v[110:111], v[96:97], v[127:128]
	s_waitcnt vmcnt(21)
	v_add_f64 v[116:117], v[84:85], v[88:89]
	v_fma_f64 v[106:107], v[114:115], -0.5, v[106:107]
	v_add_f64 v[96:97], v[100:101], -v[96:97]
	v_add_f64 v[114:115], v[88:89], v[92:93]
	v_add_f64 v[98:99], v[98:99], v[102:103]
	;; [unrolled: 1-line block ×3, first 2 shown]
	v_fma_f64 v[100:101], v[118:119], s[4:5], v[104:105]
	v_fma_f64 v[104:105], v[118:119], s[6:7], v[104:105]
	v_fma_f64 v[92:93], v[116:117], -0.5, v[92:93]
	v_add_f64 v[116:117], v[90:91], -v[86:87]
	v_fma_f64 v[143:144], v[96:97], s[6:7], v[106:107]
	v_fma_f64 v[96:97], v[96:97], s[4:5], v[106:107]
	v_add_f64 v[90:91], v[90:91], v[94:95]
	v_add_f64 v[106:107], v[84:85], v[114:115]
	s_waitcnt vmcnt(18)
	v_add_f64 v[114:115], v[72:73], v[76:77]
	v_fma_f64 v[94:95], v[102:103], -0.5, v[94:95]
	v_add_f64 v[84:85], v[88:89], -v[84:85]
	v_add_f64 v[102:103], v[76:77], v[80:81]
	v_fma_f64 v[88:89], v[116:117], s[4:5], v[92:93]
	v_fma_f64 v[92:93], v[116:117], s[6:7], v[92:93]
	v_add_f64 v[86:87], v[86:87], v[90:91]
	v_add_f64 v[90:91], v[74:75], v[78:79]
	v_fma_f64 v[80:81], v[114:115], -0.5, v[80:81]
	v_add_f64 v[114:115], v[78:79], -v[74:75]
	v_fma_f64 v[145:146], v[84:85], s[6:7], v[94:95]
	v_fma_f64 v[84:85], v[84:85], s[4:5], v[94:95]
	v_add_f64 v[78:79], v[78:79], v[82:83]
	v_add_f64 v[94:95], v[72:73], v[102:103]
	s_waitcnt vmcnt(15)
	v_add_f64 v[102:103], v[60:61], v[64:65]
	v_fma_f64 v[82:83], v[90:91], -0.5, v[82:83]
	v_add_f64 v[72:73], v[76:77], -v[72:73]
	v_add_f64 v[90:91], v[64:65], v[68:69]
	v_fma_f64 v[76:77], v[114:115], s[4:5], v[80:81]
	v_fma_f64 v[80:81], v[114:115], s[6:7], v[80:81]
	v_add_f64 v[78:79], v[74:75], v[78:79]
	v_add_f64 v[74:75], v[62:63], v[66:67]
	v_fma_f64 v[68:69], v[102:103], -0.5, v[68:69]
	v_add_f64 v[102:103], v[66:67], -v[62:63]
	v_add_f64 v[66:67], v[66:67], v[70:71]
	v_fma_f64 v[147:148], v[72:73], s[6:7], v[82:83]
	v_fma_f64 v[82:83], v[72:73], s[4:5], v[82:83]
	v_add_f64 v[72:73], v[60:61], v[90:91]
	s_waitcnt vmcnt(12)
	v_add_f64 v[90:91], v[48:49], v[52:53]
	v_fma_f64 v[70:71], v[74:75], -0.5, v[70:71]
	v_add_f64 v[60:61], v[64:65], -v[60:61]
	v_add_f64 v[74:75], v[52:53], v[56:57]
	v_add_f64 v[149:150], v[62:63], v[66:67]
	;; [unrolled: 1-line block ×3, first 2 shown]
	v_add_f64 v[66:67], v[54:55], -v[50:51]
	v_add_f64 v[54:55], v[54:55], v[58:59]
	v_fma_f64 v[56:57], v[90:91], -0.5, v[56:57]
	v_fma_f64 v[64:65], v[102:103], s[4:5], v[68:69]
	v_fma_f64 v[90:91], v[60:61], s[6:7], v[70:71]
	;; [unrolled: 1-line block ×3, first 2 shown]
	v_add_f64 v[60:61], v[48:49], v[74:75]
	s_waitcnt vmcnt(9)
	v_add_f64 v[70:71], v[36:37], v[40:41]
	v_fma_f64 v[58:59], v[62:63], -0.5, v[58:59]
	v_add_f64 v[48:49], v[52:53], -v[48:49]
	v_add_f64 v[62:63], v[40:41], v[44:45]
	v_add_f64 v[153:154], v[50:51], v[54:55]
	;; [unrolled: 1-line block ×3, first 2 shown]
	v_add_f64 v[54:55], v[42:43], -v[38:39]
	v_add_f64 v[42:43], v[42:43], v[46:47]
	v_fma_f64 v[44:45], v[70:71], -0.5, v[44:45]
	v_fma_f64 v[52:53], v[66:67], s[4:5], v[56:57]
	v_fma_f64 v[155:156], v[48:49], s[6:7], v[58:59]
	;; [unrolled: 1-line block ×3, first 2 shown]
	v_add_f64 v[48:49], v[36:37], v[62:63]
	v_fma_f64 v[46:47], v[50:51], -0.5, v[46:47]
	v_add_f64 v[36:37], v[40:41], -v[36:37]
	v_add_f64 v[38:39], v[38:39], v[42:43]
	s_waitcnt vmcnt(6)
	v_add_f64 v[42:43], v[26:27], v[30:31]
	v_add_f64 v[58:59], v[24:25], v[28:29]
	v_fma_f64 v[40:41], v[54:55], s[4:5], v[44:45]
	v_fma_f64 v[44:45], v[54:55], s[6:7], v[44:45]
	v_add_f64 v[50:51], v[28:29], v[32:33]
	v_add_f64 v[54:55], v[30:31], -v[26:27]
	v_fma_f64 v[159:160], v[36:37], s[6:7], v[46:47]
	v_fma_f64 v[36:37], v[36:37], s[4:5], v[46:47]
	v_add_f64 v[30:31], v[30:31], v[34:35]
	v_fma_f64 v[34:35], v[42:43], -0.5, v[34:35]
	v_add_f64 v[28:29], v[28:29], -v[24:25]
	s_waitcnt vmcnt(4)
	v_add_f64 v[46:47], v[16:17], v[20:21]
	v_fma_f64 v[32:33], v[58:59], -0.5, v[32:33]
	s_waitcnt vmcnt(3)
	v_add_f64 v[58:59], v[4:5], v[16:17]
	v_add_f64 v[24:25], v[24:25], v[50:51]
	v_add_f64 v[50:51], v[18:19], -v[6:7]
	v_add_f64 v[30:31], v[26:27], v[30:31]
	v_add_f64 v[26:27], v[6:7], v[18:19]
	v_fma_f64 v[161:162], v[28:29], s[6:7], v[34:35]
	v_fma_f64 v[28:29], v[28:29], s[4:5], v[34:35]
	v_add_f64 v[34:35], v[4:5], v[46:47]
	s_waitcnt vmcnt(0)
	v_add_f64 v[46:47], v[0:1], v[8:9]
	v_fma_f64 v[20:21], v[58:59], -0.5, v[20:21]
	v_add_f64 v[18:19], v[18:19], v[22:23]
	v_add_f64 v[4:5], v[16:17], -v[4:5]
	v_fma_f64 v[22:23], v[26:27], -0.5, v[22:23]
	v_add_f64 v[16:17], v[8:9], v[12:13]
	v_add_f64 v[26:27], v[10:11], -v[2:3]
	v_fma_f64 v[42:43], v[54:55], s[4:5], v[32:33]
	v_fma_f64 v[12:13], v[46:47], -0.5, v[12:13]
	v_fma_f64 v[32:33], v[54:55], s[6:7], v[32:33]
	v_fma_f64 v[54:55], v[50:51], s[4:5], v[20:21]
	;; [unrolled: 1-line block ×3, first 2 shown]
	v_add_f64 v[50:51], v[2:3], v[10:11]
	v_fma_f64 v[68:69], v[102:103], s[6:7], v[68:69]
	v_fma_f64 v[56:57], v[66:67], s[6:7], v[56:57]
	v_add_f64 v[8:9], v[8:9], -v[0:1]
	v_fma_f64 v[165:166], v[4:5], s[6:7], v[22:23]
	v_fma_f64 v[167:168], v[4:5], s[4:5], v[22:23]
	v_add_f64 v[0:1], v[0:1], v[16:17]
	v_fma_f64 v[4:5], v[26:27], s[4:5], v[12:13]
	v_add_f64 v[163:164], v[6:7], v[18:19]
	v_fma_f64 v[6:7], v[26:27], s[6:7], v[12:13]
	v_mad_i32_i24 v175, v123, 24, 0
	v_add_f64 v[10:11], v[10:11], v[14:15]
	v_fma_f64 v[14:15], v[50:51], -0.5, v[14:15]
	ds_write2_b64 v132, v[112:113], v[129:130] offset1:1
	ds_write_b64 v132, v[108:109] offset:16
	ds_write2_b64 v175, v[110:111], v[100:101] offset1:1
	ds_write_b64 v175, v[104:105] offset:16
	v_mad_i32_i24 v100, v124, 24, 0
	ds_write2_b64 v100, v[106:107], v[88:89] offset1:1
	ds_write_b64 v100, v[92:93] offset:16
	v_mad_i32_i24 v107, v125, 24, 0
	;; [unrolled: 3-line block ×3, first 2 shown]
	v_mad_i32_i24 v102, v131, 24, 0
	v_mad_i32_i24 v76, v133, 24, 0
	ds_write2_b64 v111, v[72:73], v[64:65] offset1:1
	ds_write_b64 v111, v[68:69] offset:16
	ds_write2_b64 v102, v[60:61], v[52:53] offset1:1
	ds_write_b64 v102, v[56:57] offset:16
	;; [unrolled: 2-line block ×3, first 2 shown]
	v_mad_i32_i24 v44, v134, 24, 0
	ds_write2_b64 v44, v[24:25], v[42:43] offset1:1
	ds_write_b64 v44, v[32:33] offset:16
	v_mad_i32_i24 v32, v135, 24, 0
	v_mad_i32_i24 v33, v136, 24, 0
	ds_write2_b64 v32, v[34:35], v[54:55] offset1:1
	ds_write_b64 v32, v[20:21] offset:16
	ds_write2_b64 v33, v[0:1], v[4:5] offset1:1
	ds_write_b64 v33, v[6:7] offset:16
	v_lshlrev_b32_e32 v0, 4, v133
	v_sub_u32_e32 v46, v76, v0
	v_lshlrev_b32_e32 v0, 4, v134
	v_lshl_add_u32 v103, v122, 3, 0
	v_lshlrev_b32_e32 v115, 4, v126
	v_sub_u32_e32 v235, v44, v0
	v_lshlrev_b32_e32 v0, 4, v135
	v_fma_f64 v[171:172], v[8:9], s[6:7], v[14:15]
	v_fma_f64 v[173:174], v[8:9], s[4:5], v[14:15]
	v_add_u32_e32 v105, 0x2000, v103
	v_add_u32_e32 v104, 0x4000, v103
	;; [unrolled: 1-line block ×4, first 2 shown]
	v_lshlrev_b32_e32 v114, 4, v125
	v_sub_u32_e32 v129, v111, v115
	v_add_u32_e32 v116, 0x2c00, v103
	v_add_u32_e32 v117, 0x5000, v103
	v_lshlrev_b32_e32 v118, 4, v131
	v_add_u32_e32 v109, 0x3400, v103
	v_add_u32_e32 v108, 0x5400, v103
	v_sub_u32_e32 v239, v32, v0
	v_add_u32_e32 v119, 0x3c00, v103
	v_add_u32_e32 v127, 0x5c00, v103
	v_lshlrev_b32_e32 v8, 4, v136
	s_movk_i32 s0, 0xab
	v_add_f64 v[169:170], v[2:3], v[10:11]
	s_waitcnt lgkmcnt(0)
	s_barrier
	ds_read2_b64 v[40:43], v105 offset0:56 offset1:164
	ds_read2_b64 v[48:51], v104 offset0:112 offset1:220
	v_lshl_add_u32 v106, v123, 3, 0
	v_lshl_add_u32 v110, v124, 3, 0
	ds_read2_b64 v[52:55], v112 offset0:16 offset1:124
	ds_read2_b64 v[56:59], v113 offset0:72 offset1:180
	v_sub_u32_e32 v128, v107, v114
	ds_read_b64 v[26:27], v103
	ds_read_b64 v[24:25], v106
	;; [unrolled: 1-line block ×4, first 2 shown]
	ds_read2_b64 v[60:63], v116 offset0:104 offset1:212
	ds_read2_b64 v[64:67], v117 offset0:32 offset1:140
	v_sub_u32_e32 v130, v102, v118
	ds_read2_b64 v[68:71], v109 offset0:64 offset1:172
	ds_read2_b64 v[72:75], v108 offset0:120 offset1:228
	ds_read_b64 v[18:19], v129
	ds_read_b64 v[16:17], v130
	;; [unrolled: 1-line block ×4, first 2 shown]
	ds_read2_b64 v[4:7], v119 offset0:24 offset1:132
	ds_read2_b64 v[0:3], v127 offset0:80 offset1:188
	v_sub_u32_e32 v47, v33, v8
	ds_read_b64 v[10:11], v239
	ds_read_b64 v[8:9], v47
	s_waitcnt lgkmcnt(0)
	s_barrier
	ds_write2_b64 v132, v[137:138], v[139:140] offset1:1
	ds_write_b64 v132, v[141:142] offset:16
	ds_write2_b64 v175, v[98:99], v[143:144] offset1:1
	ds_write_b64 v175, v[96:97] offset:16
	;; [unrolled: 2-line block ×10, first 2 shown]
	v_mul_lo_u16_sdwa v28, v122, s0 dst_sel:DWORD dst_unused:UNUSED_PAD src0_sel:BYTE_0 src1_sel:DWORD
	v_lshrrev_b16_e32 v28, 9, v28
	v_mul_lo_u16_e32 v29, 3, v28
	v_sub_u16_e32 v29, v122, v29
	v_mov_b32_e32 v132, 5
	v_lshlrev_b32_sdwa v30, v132, v29 dst_sel:DWORD dst_unused:UNUSED_PAD src0_sel:DWORD src1_sel:BYTE_0
	s_waitcnt lgkmcnt(0)
	s_barrier
	global_load_dwordx4 v[76:79], v30, s[8:9]
	global_load_dwordx4 v[80:83], v30, s[8:9] offset:16
	v_mul_lo_u16_sdwa v30, v123, s0 dst_sel:DWORD dst_unused:UNUSED_PAD src0_sel:BYTE_0 src1_sel:DWORD
	v_lshrrev_b16_e32 v30, 9, v30
	v_mul_lo_u16_e32 v31, 3, v30
	v_sub_u16_e32 v31, v123, v31
	v_lshlrev_b32_sdwa v32, v132, v31 dst_sel:DWORD dst_unused:UNUSED_PAD src0_sel:DWORD src1_sel:BYTE_0
	s_mov_b32 s0, 0xaaab
	global_load_dwordx4 v[84:87], v32, s[8:9]
	global_load_dwordx4 v[88:91], v32, s[8:9] offset:16
	v_mul_u32_u24_sdwa v32, v124, s0 dst_sel:DWORD dst_unused:UNUSED_PAD src0_sel:WORD_0 src1_sel:DWORD
	v_lshrrev_b32_e32 v32, 17, v32
	v_mul_lo_u16_e32 v33, 3, v32
	v_sub_u16_e32 v33, v124, v33
	v_lshlrev_b32_e32 v34, 5, v33
	ds_read2_b64 v[92:95], v105 offset0:56 offset1:164
	ds_read2_b64 v[96:99], v104 offset0:112 offset1:220
	global_load_dwordx4 v[137:140], v34, s[8:9] offset:16
	global_load_dwordx4 v[141:144], v34, s[8:9]
	v_mul_u32_u24_sdwa v34, v125, s0 dst_sel:DWORD dst_unused:UNUSED_PAD src0_sel:WORD_0 src1_sel:DWORD
	v_lshrrev_b32_e32 v34, 17, v34
	v_mul_lo_u16_e32 v35, 3, v34
	v_sub_u16_e32 v35, v125, v35
	v_lshlrev_b32_e32 v36, 5, v35
	ds_read2_b64 v[145:148], v112 offset0:16 offset1:124
	ds_read2_b64 v[149:152], v113 offset0:72 offset1:180
	global_load_dwordx4 v[153:156], v36, s[8:9] offset:16
	global_load_dwordx4 v[157:160], v36, s[8:9]
	v_mul_u32_u24_sdwa v36, v126, s0 dst_sel:DWORD dst_unused:UNUSED_PAD src0_sel:WORD_0 src1_sel:DWORD
	v_lshrrev_b32_e32 v36, 17, v36
	v_mul_lo_u16_e32 v37, 3, v36
	v_sub_u16_e32 v37, v126, v37
	v_lshlrev_b32_e32 v38, 5, v37
	global_load_dwordx4 v[161:164], v38, s[8:9] offset:16
	global_load_dwordx4 v[165:168], v38, s[8:9]
	v_mul_u32_u24_sdwa v38, v131, s0 dst_sel:DWORD dst_unused:UNUSED_PAD src0_sel:WORD_0 src1_sel:DWORD
	v_lshrrev_b32_e32 v38, 17, v38
	v_mul_lo_u16_e32 v39, 3, v38
	v_sub_u16_e32 v39, v131, v39
	v_lshlrev_b32_e32 v44, 5, v39
	;; [unrolled: 7-line block ×4, first 2 shown]
	ds_read_b64 v[44:45], v103
	ds_read_b64 v[100:101], v106
	;; [unrolled: 1-line block ×4, first 2 shown]
	global_load_dwordx4 v[185:188], v131, s[8:9] offset:16
	global_load_dwordx4 v[189:192], v131, s[8:9]
	v_mul_u32_u24_sdwa v131, v135, s0 dst_sel:DWORD dst_unused:UNUSED_PAD src0_sel:WORD_0 src1_sel:DWORD
	v_lshrrev_b32_e32 v244, 17, v131
	v_mul_lo_u16_e32 v131, 3, v244
	v_sub_u16_e32 v245, v135, v131
	v_lshlrev_b32_e32 v131, 5, v245
	global_load_dwordx4 v[193:196], v131, s[8:9] offset:16
	global_load_dwordx4 v[197:200], v131, s[8:9]
	v_mul_u32_u24_sdwa v131, v136, s0 dst_sel:DWORD dst_unused:UNUSED_PAD src0_sel:WORD_0 src1_sel:DWORD
	v_lshrrev_b32_e32 v246, 17, v131
	v_mul_lo_u16_e32 v131, 3, v246
	v_sub_u16_e32 v247, v136, v131
	v_lshlrev_b32_e32 v131, 5, v247
	ds_read2_b64 v[201:204], v116 offset0:104 offset1:212
	ds_read2_b64 v[205:208], v117 offset0:32 offset1:140
	global_load_dwordx4 v[133:136], v131, s[8:9] offset:16
	global_load_dwordx4 v[209:212], v131, s[8:9]
	ds_read2_b64 v[213:216], v109 offset0:64 offset1:172
	ds_read2_b64 v[217:220], v108 offset0:120 offset1:228
	ds_read_b64 v[229:230], v129
	ds_read_b64 v[231:232], v130
	;; [unrolled: 1-line block ×4, first 2 shown]
	v_mov_b32_e32 v131, 3
	s_mov_b32 s0, 0xe38f
	s_mov_b32 s11, 0x3fee6f0e
	;; [unrolled: 1-line block ×14, first 2 shown]
	s_waitcnt vmcnt(19) lgkmcnt(14)
	v_mul_f64 v[225:226], v[92:93], v[78:79]
	v_mul_f64 v[78:79], v[40:41], v[78:79]
	s_waitcnt vmcnt(18)
	v_mul_f64 v[227:228], v[96:97], v[82:83]
	v_mul_f64 v[82:83], v[48:49], v[82:83]
	s_waitcnt vmcnt(17)
	v_mul_f64 v[237:238], v[94:95], v[86:87]
	v_mul_f64 v[86:87], v[42:43], v[86:87]
	v_fma_f64 v[40:41], v[40:41], v[76:77], v[225:226]
	s_waitcnt vmcnt(16)
	v_mul_f64 v[225:226], v[98:99], v[90:91]
	v_fma_f64 v[92:93], v[92:93], v[76:77], -v[78:79]
	ds_read2_b64 v[76:79], v119 offset0:24 offset1:132
	v_fma_f64 v[48:49], v[48:49], v[80:81], v[227:228]
	v_fma_f64 v[96:97], v[96:97], v[80:81], -v[82:83]
	v_fma_f64 v[42:43], v[42:43], v[84:85], v[237:238]
	v_fma_f64 v[84:85], v[94:95], v[84:85], -v[86:87]
	v_mul_f64 v[86:87], v[50:51], v[90:91]
	s_waitcnt vmcnt(14) lgkmcnt(14)
	v_mul_f64 v[90:91], v[145:146], v[143:144]
	v_mul_f64 v[94:95], v[52:53], v[143:144]
	s_waitcnt lgkmcnt(13)
	v_mul_f64 v[237:238], v[149:150], v[139:140]
	v_mul_f64 v[139:140], v[56:57], v[139:140]
	v_fma_f64 v[50:51], v[50:51], v[88:89], v[225:226]
	ds_read2_b64 v[80:83], v127 offset0:80 offset1:188
	ds_read_b64 v[143:144], v239
	ds_read_b64 v[227:228], v47
	v_fma_f64 v[86:87], v[98:99], v[88:89], -v[86:87]
	v_fma_f64 v[52:53], v[52:53], v[141:142], v[90:91]
	s_waitcnt vmcnt(12)
	v_mul_f64 v[88:89], v[147:148], v[159:160]
	v_fma_f64 v[90:91], v[145:146], v[141:142], -v[94:95]
	v_fma_f64 v[56:57], v[56:57], v[137:138], v[237:238]
	v_fma_f64 v[137:138], v[149:150], v[137:138], -v[139:140]
	v_mul_f64 v[139:140], v[58:59], v[155:156]
	s_waitcnt vmcnt(10) lgkmcnt(11)
	v_mul_f64 v[141:142], v[201:202], v[167:168]
	v_mul_f64 v[94:95], v[54:55], v[159:160]
	v_mul_f64 v[98:99], v[151:152], v[155:156]
	v_fma_f64 v[54:55], v[54:55], v[157:158], v[88:89]
	v_mul_f64 v[88:89], v[60:61], v[167:168]
	s_waitcnt lgkmcnt(10)
	v_mul_f64 v[145:146], v[205:206], v[163:164]
	s_waitcnt vmcnt(9)
	v_mul_f64 v[149:150], v[66:67], v[171:172]
	v_fma_f64 v[139:140], v[151:152], v[153:154], -v[139:140]
	v_fma_f64 v[60:61], v[60:61], v[165:166], v[141:142]
	s_waitcnt vmcnt(8)
	v_mul_f64 v[141:142], v[203:204], v[175:176]
	s_waitcnt vmcnt(6) lgkmcnt(9)
	v_mul_f64 v[151:152], v[213:214], v[183:184]
	v_fma_f64 v[94:95], v[147:148], v[157:158], -v[94:95]
	v_mul_f64 v[147:148], v[62:63], v[175:176]
	v_fma_f64 v[58:59], v[58:59], v[153:154], v[98:99]
	v_mul_f64 v[98:99], v[64:65], v[163:164]
	v_fma_f64 v[64:65], v[64:65], v[161:162], v[145:146]
	;; [unrolled: 2-line block ×4, first 2 shown]
	s_waitcnt vmcnt(4)
	v_mul_f64 v[151:152], v[215:216], v[191:192]
	s_waitcnt lgkmcnt(8)
	v_mul_f64 v[153:154], v[217:218], v[179:180]
	v_mul_f64 v[155:156], v[70:71], v[191:192]
	v_fma_f64 v[98:99], v[205:206], v[161:162], -v[98:99]
	v_fma_f64 v[66:67], v[66:67], v[169:170], v[145:146]
	v_mul_f64 v[145:146], v[72:73], v[179:180]
	s_waitcnt vmcnt(2) lgkmcnt(3)
	v_mul_f64 v[159:160], v[76:77], v[199:200]
	s_waitcnt lgkmcnt(2)
	v_mul_f64 v[161:162], v[80:81], v[195:196]
	v_fma_f64 v[70:71], v[70:71], v[189:190], v[151:152]
	v_mul_f64 v[151:152], v[4:5], v[199:200]
	v_fma_f64 v[72:73], v[72:73], v[177:178], v[153:154]
	v_mul_f64 v[153:154], v[219:220], v[187:188]
	v_mul_f64 v[157:158], v[74:75], v[187:188]
	v_fma_f64 v[88:89], v[201:202], v[165:166], -v[88:89]
	v_fma_f64 v[4:5], v[4:5], v[197:198], v[159:160]
	s_waitcnt vmcnt(0)
	v_mul_f64 v[159:160], v[78:79], v[211:212]
	v_fma_f64 v[147:148], v[203:204], v[173:174], -v[147:148]
	v_fma_f64 v[76:77], v[76:77], v[197:198], -v[151:152]
	v_mul_f64 v[151:152], v[6:7], v[211:212]
	v_fma_f64 v[74:75], v[74:75], v[185:186], v[153:154]
	v_mul_f64 v[153:154], v[0:1], v[195:196]
	v_fma_f64 v[0:1], v[0:1], v[193:194], v[161:162]
	v_add_f64 v[161:162], v[40:41], v[48:49]
	v_fma_f64 v[6:7], v[6:7], v[209:210], v[159:160]
	v_add_f64 v[159:160], v[26:27], v[40:41]
	v_add_f64 v[40:41], v[40:41], -v[48:49]
	v_fma_f64 v[78:79], v[78:79], v[209:210], -v[151:152]
	v_add_f64 v[151:152], v[92:93], v[96:97]
	v_fma_f64 v[80:81], v[80:81], v[193:194], -v[153:154]
	v_mul_f64 v[153:154], v[82:83], v[135:136]
	v_mul_f64 v[135:136], v[2:3], v[135:136]
	v_fma_f64 v[26:27], v[161:162], -0.5, v[26:27]
	v_add_f64 v[161:162], v[92:93], -v[96:97]
	v_add_f64 v[92:93], v[44:45], v[92:93]
	v_fma_f64 v[149:150], v[207:208], v[169:170], -v[149:150]
	v_fma_f64 v[44:45], v[151:152], -0.5, v[44:45]
	v_add_f64 v[151:152], v[24:25], v[42:43]
	v_fma_f64 v[2:3], v[2:3], v[133:134], v[153:154]
	v_fma_f64 v[82:83], v[82:83], v[133:134], -v[135:136]
	v_add_f64 v[133:134], v[159:160], v[48:49]
	v_add_f64 v[135:136], v[42:43], v[50:51]
	;; [unrolled: 1-line block ×4, first 2 shown]
	v_fma_f64 v[153:154], v[40:41], s[6:7], v[44:45]
	v_fma_f64 v[159:160], v[40:41], s[4:5], v[44:45]
	v_add_f64 v[40:41], v[100:101], v[84:85]
	v_add_f64 v[42:43], v[42:43], -v[50:51]
	v_add_f64 v[44:45], v[151:152], v[50:51]
	v_fma_f64 v[24:25], v[135:136], -0.5, v[24:25]
	v_add_f64 v[135:136], v[84:85], -v[86:87]
	v_add_f64 v[84:85], v[52:53], v[56:57]
	v_fma_f64 v[96:97], v[96:97], -0.5, v[100:101]
	v_add_f64 v[100:101], v[22:23], v[52:53]
	v_add_f64 v[86:87], v[40:41], v[86:87]
	;; [unrolled: 1-line block ×3, first 2 shown]
	v_add_f64 v[52:53], v[52:53], -v[56:57]
	v_fma_f64 v[48:49], v[161:162], s[4:5], v[26:27]
	v_fma_f64 v[50:51], v[135:136], s[4:5], v[24:25]
	;; [unrolled: 1-line block ×3, first 2 shown]
	v_fma_f64 v[22:23], v[84:85], -0.5, v[22:23]
	v_add_f64 v[84:85], v[90:91], -v[137:138]
	v_fma_f64 v[135:136], v[42:43], s[6:7], v[96:97]
	v_fma_f64 v[96:97], v[42:43], s[4:5], v[96:97]
	v_add_f64 v[42:43], v[221:222], v[90:91]
	v_add_f64 v[90:91], v[100:101], v[56:57]
	;; [unrolled: 1-line block ×3, first 2 shown]
	v_fma_f64 v[40:41], v[40:41], -0.5, v[221:222]
	v_fma_f64 v[26:27], v[161:162], s[6:7], v[26:27]
	v_fma_f64 v[56:57], v[84:85], s[4:5], v[22:23]
	;; [unrolled: 1-line block ×3, first 2 shown]
	v_add_f64 v[84:85], v[20:21], v[54:55]
	v_add_f64 v[137:138], v[42:43], v[137:138]
	v_add_f64 v[42:43], v[94:95], v[139:140]
	v_fma_f64 v[20:21], v[100:101], -0.5, v[20:21]
	v_add_f64 v[100:101], v[94:95], -v[139:140]
	v_fma_f64 v[151:152], v[52:53], s[6:7], v[40:41]
	v_fma_f64 v[161:162], v[52:53], s[4:5], v[40:41]
	v_add_f64 v[40:41], v[223:224], v[94:95]
	v_add_f64 v[52:53], v[84:85], v[58:59]
	v_add_f64 v[84:85], v[60:61], v[64:65]
	v_fma_f64 v[42:43], v[42:43], -0.5, v[223:224]
	v_add_f64 v[54:55], v[54:55], -v[58:59]
	v_fma_f64 v[58:59], v[100:101], s[4:5], v[20:21]
	v_fma_f64 v[20:21], v[100:101], s[6:7], v[20:21]
	v_add_f64 v[94:95], v[18:19], v[60:61]
	v_add_f64 v[100:101], v[40:41], v[139:140]
	v_add_f64 v[40:41], v[88:89], v[98:99]
	v_fma_f64 v[18:19], v[84:85], -0.5, v[18:19]
	v_add_f64 v[84:85], v[88:89], -v[98:99]
	v_fma_f64 v[139:140], v[54:55], s[6:7], v[42:43]
	v_fma_f64 v[163:164], v[54:55], s[4:5], v[42:43]
	v_add_f64 v[42:43], v[229:230], v[88:89]
	v_add_f64 v[88:89], v[62:63], v[66:67]
	v_add_f64 v[60:61], v[60:61], -v[64:65]
	v_fma_f64 v[40:41], v[40:41], -0.5, v[229:230]
	v_fma_f64 v[141:142], v[213:214], v[181:182], -v[141:142]
	v_fma_f64 v[145:146], v[217:218], v[177:178], -v[145:146]
	v_add_f64 v[54:55], v[94:95], v[64:65]
	v_fma_f64 v[64:65], v[84:85], s[4:5], v[18:19]
	v_fma_f64 v[18:19], v[84:85], s[6:7], v[18:19]
	v_add_f64 v[84:85], v[16:17], v[62:63]
	v_add_f64 v[94:95], v[42:43], v[98:99]
	;; [unrolled: 1-line block ×3, first 2 shown]
	v_fma_f64 v[16:17], v[88:89], -0.5, v[16:17]
	v_add_f64 v[88:89], v[147:148], -v[149:150]
	v_fma_f64 v[98:99], v[60:61], s[6:7], v[40:41]
	v_fma_f64 v[60:61], v[60:61], s[4:5], v[40:41]
	v_add_f64 v[40:41], v[231:232], v[147:148]
	v_add_f64 v[147:148], v[68:69], v[72:73]
	v_fma_f64 v[155:156], v[215:216], v[189:190], -v[155:156]
	v_fma_f64 v[157:158], v[219:220], v[185:186], -v[157:158]
	v_add_f64 v[84:85], v[84:85], v[66:67]
	v_fma_f64 v[42:43], v[42:43], -0.5, v[231:232]
	v_add_f64 v[62:63], v[62:63], -v[66:67]
	v_fma_f64 v[66:67], v[88:89], s[4:5], v[16:17]
	v_fma_f64 v[16:17], v[88:89], s[6:7], v[16:17]
	v_add_f64 v[88:89], v[14:15], v[68:69]
	v_add_f64 v[149:150], v[40:41], v[149:150]
	;; [unrolled: 1-line block ×3, first 2 shown]
	v_fma_f64 v[14:15], v[147:148], -0.5, v[14:15]
	v_add_f64 v[147:148], v[141:142], -v[145:146]
	v_add_f64 v[141:142], v[233:234], v[141:142]
	v_fma_f64 v[165:166], v[62:63], s[6:7], v[42:43]
	v_fma_f64 v[62:63], v[62:63], s[4:5], v[42:43]
	v_add_f64 v[42:43], v[88:89], v[72:73]
	v_add_f64 v[88:89], v[70:71], v[74:75]
	v_fma_f64 v[40:41], v[40:41], -0.5, v[233:234]
	v_add_f64 v[68:69], v[68:69], -v[72:73]
	v_add_f64 v[169:170], v[4:5], v[0:1]
	v_add_f64 v[141:142], v[141:142], v[145:146]
	;; [unrolled: 1-line block ×3, first 2 shown]
	v_fma_f64 v[72:73], v[147:148], s[4:5], v[14:15]
	v_fma_f64 v[14:15], v[147:148], s[6:7], v[14:15]
	v_add_f64 v[147:148], v[12:13], v[70:71]
	v_fma_f64 v[12:13], v[88:89], -0.5, v[12:13]
	v_add_f64 v[88:89], v[155:156], -v[157:158]
	v_fma_f64 v[167:168], v[68:69], s[6:7], v[40:41]
	v_fma_f64 v[68:69], v[68:69], s[4:5], v[40:41]
	v_add_f64 v[40:41], v[235:236], v[155:156]
	v_fma_f64 v[145:146], v[145:146], -0.5, v[235:236]
	v_add_f64 v[70:71], v[70:71], -v[74:75]
	v_add_f64 v[155:156], v[10:11], v[4:5]
	v_fma_f64 v[10:11], v[169:170], -0.5, v[10:11]
	v_add_f64 v[169:170], v[76:77], -v[80:81]
	v_add_f64 v[74:75], v[147:148], v[74:75]
	v_fma_f64 v[147:148], v[88:89], s[4:5], v[12:13]
	v_fma_f64 v[12:13], v[88:89], s[6:7], v[12:13]
	v_add_f64 v[88:89], v[40:41], v[157:158]
	v_fma_f64 v[157:158], v[70:71], s[6:7], v[145:146]
	v_add_f64 v[40:41], v[76:77], v[80:81]
	;; [unrolled: 2-line block ×3, first 2 shown]
	v_add_f64 v[155:156], v[6:7], v[2:3]
	v_fma_f64 v[171:172], v[169:170], s[4:5], v[10:11]
	v_fma_f64 v[10:11], v[169:170], s[6:7], v[10:11]
	v_add_f64 v[169:170], v[78:79], v[82:83]
	s_waitcnt lgkmcnt(1)
	v_add_f64 v[76:77], v[143:144], v[76:77]
	v_fma_f64 v[40:41], v[40:41], -0.5, v[143:144]
	v_add_f64 v[0:1], v[4:5], -v[0:1]
	v_add_f64 v[4:5], v[8:9], v[6:7]
	v_fma_f64 v[8:9], v[155:156], -0.5, v[8:9]
	v_add_f64 v[143:144], v[78:79], -v[82:83]
	s_waitcnt lgkmcnt(0)
	v_add_f64 v[78:79], v[227:228], v[78:79]
	v_fma_f64 v[155:156], v[169:170], -0.5, v[227:228]
	v_add_f64 v[6:7], v[6:7], -v[2:3]
	v_add_f64 v[76:77], v[76:77], v[80:81]
	v_fma_f64 v[80:81], v[0:1], s[6:7], v[40:41]
	v_fma_f64 v[169:170], v[0:1], s[4:5], v[40:41]
	v_add_f64 v[0:1], v[4:5], v[2:3]
	v_fma_f64 v[2:3], v[143:144], s[4:5], v[8:9]
	v_fma_f64 v[4:5], v[143:144], s[6:7], v[8:9]
	;; [unrolled: 3-line block ×3, first 2 shown]
	v_mul_u32_u24_e32 v6, 0x48, v28
	v_lshlrev_b32_sdwa v7, v131, v29 dst_sel:DWORD dst_unused:UNUSED_PAD src0_sel:DWORD src1_sel:BYTE_0
	v_add3_u32 v155, 0, v6, v7
	v_mul_u32_u24_e32 v6, 0x48, v30
	v_lshlrev_b32_sdwa v7, v131, v31 dst_sel:DWORD dst_unused:UNUSED_PAD src0_sel:DWORD src1_sel:BYTE_0
	s_barrier
	ds_write2_b64 v155, v[133:134], v[48:49] offset1:3
	ds_write_b64 v155, v[26:27] offset:48
	v_add3_u32 v133, 0, v6, v7
	v_mul_u32_u24_e32 v6, 0x48, v32
	v_lshlrev_b32_e32 v7, 3, v33
	ds_write2_b64 v133, v[44:45], v[50:51] offset1:3
	ds_write_b64 v133, v[24:25] offset:48
	v_add3_u32 v50, 0, v6, v7
	v_mul_u32_u24_e32 v6, 0x48, v34
	v_lshlrev_b32_e32 v7, 3, v35
	v_add3_u32 v51, 0, v6, v7
	v_mul_u32_u24_e32 v6, 0x48, v36
	v_lshlrev_b32_e32 v7, 3, v37
	ds_write2_b64 v50, v[90:91], v[56:57] offset1:3
	ds_write_b64 v50, v[22:23] offset:48
	ds_write2_b64 v51, v[52:53], v[58:59] offset1:3
	ds_write_b64 v51, v[20:21] offset:48
	v_add3_u32 v58, 0, v6, v7
	v_mul_u32_u24_e32 v6, 0x48, v38
	v_lshlrev_b32_e32 v7, 3, v39
	v_add3_u32 v59, 0, v6, v7
	v_mul_u32_u24_e32 v6, 0x48, v240
	v_lshlrev_b32_e32 v7, 3, v241
	ds_write2_b64 v58, v[54:55], v[64:65] offset1:3
	ds_write_b64 v58, v[18:19] offset:48
	v_add3_u32 v64, 0, v6, v7
	v_mul_u32_u24_e32 v6, 0x48, v242
	v_lshlrev_b32_e32 v7, 3, v243
	v_add3_u32 v65, 0, v6, v7
	v_mul_u32_u24_e32 v6, 0x48, v244
	v_lshlrev_b32_e32 v7, 3, v245
	ds_write2_b64 v59, v[84:85], v[66:67] offset1:3
	ds_write_b64 v59, v[16:17] offset:48
	v_add3_u32 v66, 0, v6, v7
	v_mul_u32_u24_e32 v6, 0x48, v246
	v_lshlrev_b32_e32 v7, 3, v247
	v_add3_u32 v67, 0, v6, v7
	v_add_u32_e32 v183, 0xc00, v103
	v_add_u32_e32 v203, 0x1400, v103
	ds_write2_b64 v64, v[42:43], v[72:73] offset1:3
	ds_write_b64 v64, v[14:15] offset:48
	ds_write2_b64 v65, v[74:75], v[147:148] offset1:3
	ds_write_b64 v65, v[12:13] offset:48
	ds_write2_b64 v66, v[145:146], v[171:172] offset1:3
	ds_write_b64 v66, v[10:11] offset:48
	ds_write2_b64 v67, v[0:1], v[2:3] offset1:3
	ds_write_b64 v67, v[4:5] offset:48
	s_waitcnt lgkmcnt(0)
	s_barrier
	ds_read_b64 v[219:220], v46
	ds_read_b64 v[223:224], v47
	ds_read2_b64 v[54:57], v112 offset0:16 offset1:124
	ds_read2_b64 v[16:19], v116 offset0:104 offset1:212
	;; [unrolled: 1-line block ×6, first 2 shown]
	ds_read_b64 v[52:53], v103
	ds_read_b64 v[48:49], v106
	ds_read2_b64 v[32:35], v183 offset0:48 offset1:156
	ds_read2_b64 v[28:31], v203 offset0:116 offset1:224
	;; [unrolled: 1-line block ×6, first 2 shown]
	ds_read_b64 v[211:212], v128
	ds_read_b64 v[44:45], v110
	s_waitcnt lgkmcnt(0)
	s_barrier
	ds_write2_b64 v155, v[92:93], v[153:154] offset1:3
	ds_write_b64 v155, v[159:160] offset:48
	ds_write2_b64 v133, v[86:87], v[135:136] offset1:3
	ds_write_b64 v133, v[96:97] offset:48
	;; [unrolled: 2-line block ×10, first 2 shown]
	v_mov_b32_e32 v50, 57
	v_mul_lo_u16_sdwa v51, v122, v50 dst_sel:DWORD dst_unused:UNUSED_PAD src0_sel:BYTE_0 src1_sel:DWORD
	v_lshrrev_b16_e32 v133, 9, v51
	v_mul_lo_u16_e32 v51, 9, v133
	v_sub_u16_e32 v134, v122, v51
	v_mov_b32_e32 v51, 9
	v_mul_u32_u24_sdwa v58, v134, v51 dst_sel:DWORD dst_unused:UNUSED_PAD src0_sel:BYTE_0 src1_sel:DWORD
	v_lshlrev_b32_e32 v90, 4, v58
	s_waitcnt lgkmcnt(0)
	s_barrier
	global_load_dwordx4 v[58:61], v90, s[8:9] offset:96
	global_load_dwordx4 v[62:65], v90, s[8:9] offset:112
	;; [unrolled: 1-line block ×8, first 2 shown]
	v_mul_lo_u16_sdwa v50, v123, v50 dst_sel:DWORD dst_unused:UNUSED_PAD src0_sel:BYTE_0 src1_sel:DWORD
	global_load_dwordx4 v[90:93], v90, s[8:9] offset:224
	v_lshrrev_b16_e32 v135, 9, v50
	v_mul_lo_u16_e32 v50, 9, v135
	v_sub_u16_e32 v136, v123, v50
	v_mul_u32_u24_sdwa v50, v136, v51 dst_sel:DWORD dst_unused:UNUSED_PAD src0_sel:BYTE_0 src1_sel:DWORD
	v_lshlrev_b32_e32 v137, 4, v50
	global_load_dwordx4 v[94:97], v137, s[8:9] offset:96
	global_load_dwordx4 v[98:101], v137, s[8:9] offset:144
	;; [unrolled: 1-line block ×4, first 2 shown]
	ds_read_b64 v[221:222], v128
	ds_read_b64 v[225:226], v46
	;; [unrolled: 1-line block ×3, first 2 shown]
	ds_read2_b64 v[147:150], v112 offset0:16 offset1:124
	ds_read2_b64 v[151:154], v116 offset0:104 offset1:212
	global_load_dwordx4 v[155:158], v137, s[8:9] offset:160
	ds_read2_b64 v[159:162], v119 offset0:24 offset1:132
	ds_read2_b64 v[163:166], v104 offset0:112 offset1:220
	;; [unrolled: 1-line block ×4, first 2 shown]
	global_load_dwordx4 v[175:178], v137, s[8:9] offset:192
	global_load_dwordx4 v[179:182], v137, s[8:9] offset:176
	ds_read_b64 v[231:232], v103
	ds_read_b64 v[50:51], v106
	ds_read2_b64 v[183:186], v183 offset0:48 offset1:156
	ds_read_b64 v[46:47], v110
	global_load_dwordx4 v[187:190], v137, s[8:9] offset:208
	global_load_dwordx4 v[191:194], v137, s[8:9] offset:224
	v_mul_u32_u24_sdwa v137, v124, s0 dst_sel:DWORD dst_unused:UNUSED_PAD src0_sel:WORD_0 src1_sel:DWORD
	v_lshrrev_b32_e32 v137, 19, v137
	v_mul_lo_u16_e32 v138, 9, v137
	v_sub_u16_e32 v138, v124, v138
	v_mul_u32_u24_e32 v195, 9, v138
	v_lshlrev_b32_e32 v247, 4, v195
	global_load_dwordx4 v[195:198], v247, s[8:9] offset:112
	global_load_dwordx4 v[199:202], v247, s[8:9] offset:96
	ds_read2_b64 v[203:206], v203 offset0:116 offset1:224
	ds_read2_b64 v[207:210], v105 offset0:56 offset1:164
	s_mov_b32 s0, 0x134454ff
	s_mov_b32 s1, 0xbfee6f0e
	;; [unrolled: 1-line block ×3, first 2 shown]
	s_waitcnt vmcnt(19) lgkmcnt(14)
	v_mul_f64 v[213:214], v[221:222], v[60:61]
	v_mul_f64 v[60:61], v[211:212], v[60:61]
	s_waitcnt vmcnt(18) lgkmcnt(13)
	v_mul_f64 v[229:230], v[225:226], v[64:65]
	v_mul_f64 v[64:65], v[219:220], v[64:65]
	;; [unrolled: 3-line block ×3, first 2 shown]
	v_fma_f64 v[233:234], v[211:212], v[58:59], v[213:214]
	global_load_dwordx4 v[211:214], v247, s[8:9] offset:144
	global_load_dwordx4 v[215:218], v247, s[8:9] offset:128
	v_fma_f64 v[237:238], v[221:222], v[58:59], -v[60:61]
	v_fma_f64 v[239:240], v[219:220], v[62:63], v[229:230]
	global_load_dwordx4 v[58:61], v247, s[8:9] offset:176
	global_load_dwordx4 v[219:222], v247, s[8:9] offset:160
	v_fma_f64 v[64:65], v[225:226], v[62:63], -v[64:65]
	s_waitcnt vmcnt(20) lgkmcnt(11)
	v_mul_f64 v[62:63], v[147:148], v[72:73]
	v_fma_f64 v[235:236], v[223:224], v[66:67], v[235:236]
	v_fma_f64 v[241:242], v[227:228], v[66:67], -v[68:69]
	v_mul_f64 v[66:67], v[54:55], v[72:73]
	s_waitcnt vmcnt(19) lgkmcnt(10)
	v_mul_f64 v[68:69], v[153:154], v[76:77]
	global_load_dwordx4 v[223:226], v247, s[8:9] offset:208
	global_load_dwordx4 v[227:230], v247, s[8:9] offset:192
	v_mul_f64 v[72:73], v[18:19], v[76:77]
	v_fma_f64 v[243:244], v[54:55], v[70:71], v[62:63]
	s_waitcnt vmcnt(20) lgkmcnt(9)
	v_mul_f64 v[54:55], v[159:160], v[80:81]
	v_mul_f64 v[62:63], v[40:41], v[80:81]
	v_fma_f64 v[147:148], v[147:148], v[70:71], -v[66:67]
	v_fma_f64 v[245:246], v[18:19], v[74:75], v[68:69]
	global_load_dwordx4 v[68:71], v247, s[8:9] offset:224
	s_waitcnt vmcnt(20) lgkmcnt(8)
	v_mul_f64 v[18:19], v[165:166], v[84:85]
	v_fma_f64 v[153:154], v[153:154], v[74:75], -v[72:73]
	s_waitcnt vmcnt(18) lgkmcnt(6)
	v_mul_f64 v[72:73], v[173:174], v[92:93]
	v_fma_f64 v[40:41], v[40:41], v[78:79], v[54:55]
	v_mul_f64 v[54:55], v[10:11], v[84:85]
	v_fma_f64 v[78:79], v[159:160], v[78:79], -v[62:63]
	v_mul_f64 v[66:67], v[167:168], v[88:89]
	v_mul_f64 v[62:63], v[36:37], v[88:89]
	v_fma_f64 v[159:160], v[10:11], v[82:83], v[18:19]
	v_mul_f64 v[10:11], v[2:3], v[92:93]
	s_waitcnt vmcnt(17) lgkmcnt(3)
	v_mul_f64 v[18:19], v[183:184], v[96:97]
	v_fma_f64 v[247:248], v[2:3], v[90:91], v[72:73]
	s_waitcnt vmcnt(16)
	v_mul_f64 v[2:3], v[149:150], v[100:101]
	ds_read2_b64 v[72:75], v109 offset0:64 offset1:172
	v_fma_f64 v[165:166], v[165:166], v[82:83], -v[54:55]
	v_fma_f64 v[36:37], v[36:37], v[86:87], v[66:67]
	v_mul_f64 v[54:55], v[32:33], v[96:97]
	v_fma_f64 v[173:174], v[173:174], v[90:91], -v[10:11]
	v_mul_f64 v[10:11], v[56:57], v[100:101]
	v_fma_f64 v[82:83], v[32:33], v[94:95], v[18:19]
	s_waitcnt vmcnt(14) lgkmcnt(2)
	v_mul_f64 v[18:19], v[203:204], v[145:146]
	v_mul_f64 v[32:33], v[28:29], v[145:146]
	v_fma_f64 v[145:146], v[56:57], v[98:99], v[2:3]
	s_waitcnt lgkmcnt(1)
	v_mul_f64 v[2:3], v[207:208], v[141:142]
	v_mul_f64 v[66:67], v[24:25], v[141:142]
	v_fma_f64 v[167:168], v[167:168], v[86:87], -v[62:63]
	v_fma_f64 v[141:142], v[149:150], v[98:99], -v[10:11]
	s_waitcnt vmcnt(13) lgkmcnt(0)
	v_mul_f64 v[10:11], v[72:73], v[157:158]
	v_fma_f64 v[149:150], v[28:29], v[143:144], v[18:19]
	v_mul_f64 v[18:19], v[20:21], v[157:158]
	v_fma_f64 v[62:63], v[183:184], v[94:95], -v[54:55]
	ds_read2_b64 v[54:57], v113 offset0:72 offset1:180
	ds_read2_b64 v[90:93], v127 offset0:80 offset1:188
	v_fma_f64 v[84:85], v[24:25], v[139:140], v[2:3]
	s_waitcnt vmcnt(11)
	v_mul_f64 v[2:3], v[161:162], v[181:182]
	v_fma_f64 v[86:87], v[20:21], v[155:156], v[10:11]
	v_mul_f64 v[10:11], v[42:43], v[181:182]
	s_waitcnt lgkmcnt(1)
	v_mul_f64 v[20:21], v[54:55], v[177:178]
	v_fma_f64 v[72:73], v[72:73], v[155:156], -v[18:19]
	v_mul_f64 v[18:19], v[12:13], v[177:178]
	v_fma_f64 v[80:81], v[207:208], v[139:140], -v[66:67]
	s_waitcnt vmcnt(10)
	v_mul_f64 v[24:25], v[38:39], v[189:190]
	v_fma_f64 v[139:140], v[42:43], v[179:180], v[2:3]
	v_mul_f64 v[2:3], v[169:170], v[189:190]
	v_fma_f64 v[155:156], v[161:162], v[179:180], -v[10:11]
	s_waitcnt vmcnt(9) lgkmcnt(0)
	v_mul_f64 v[10:11], v[90:91], v[193:194]
	v_fma_f64 v[88:89], v[12:13], v[175:176], v[20:21]
	v_mul_f64 v[12:13], v[4:5], v[193:194]
	v_fma_f64 v[76:77], v[54:55], v[175:176], -v[18:19]
	s_waitcnt vmcnt(7)
	v_mul_f64 v[18:19], v[185:186], v[201:202]
	v_fma_f64 v[143:144], v[203:204], v[143:144], -v[32:33]
	v_fma_f64 v[157:158], v[38:39], v[187:188], v[2:3]
	v_fma_f64 v[161:162], v[169:170], v[187:188], -v[24:25]
	v_fma_f64 v[96:97], v[4:5], v[191:192], v[10:11]
	v_mul_f64 v[2:3], v[34:35], v[201:202]
	v_mul_f64 v[20:21], v[205:206], v[197:198]
	v_fma_f64 v[66:67], v[90:91], v[191:192], -v[12:13]
	v_mul_f64 v[4:5], v[30:31], v[197:198]
	v_fma_f64 v[18:19], v[34:35], v[199:200], v[18:19]
	v_add_f64 v[42:43], v[52:53], v[239:240]
	s_waitcnt vmcnt(6)
	v_mul_f64 v[24:25], v[151:152], v[213:214]
	s_waitcnt vmcnt(5)
	v_mul_f64 v[10:11], v[209:210], v[217:218]
	v_mul_f64 v[12:13], v[26:27], v[217:218]
	;; [unrolled: 1-line block ×3, first 2 shown]
	s_waitcnt vmcnt(3)
	v_mul_f64 v[34:35], v[74:75], v[221:222]
	v_mul_f64 v[38:39], v[8:9], v[60:61]
	v_fma_f64 v[28:29], v[30:31], v[195:196], v[20:21]
	v_fma_f64 v[20:21], v[205:206], v[195:196], -v[4:5]
	v_fma_f64 v[30:31], v[16:17], v[211:212], v[24:25]
	v_fma_f64 v[10:11], v[26:27], v[215:216], v[10:11]
	v_mul_f64 v[26:27], v[163:164], v[60:61]
	v_fma_f64 v[4:5], v[209:210], v[215:216], -v[12:13]
	v_mul_f64 v[12:13], v[22:23], v[221:222]
	v_fma_f64 v[24:25], v[151:152], v[211:212], -v[32:33]
	v_fma_f64 v[16:17], v[22:23], v[219:220], v[34:35]
	s_waitcnt vmcnt(1)
	v_mul_f64 v[34:35], v[56:57], v[229:230]
	v_fma_f64 v[22:23], v[163:164], v[58:59], -v[38:39]
	v_mul_f64 v[38:39], v[171:172], v[225:226]
	v_fma_f64 v[32:33], v[8:9], v[58:59], v[26:27]
	v_mul_f64 v[8:9], v[14:15], v[229:230]
	v_add_f64 v[26:27], v[243:244], v[40:41]
	v_add_f64 v[42:43], v[42:43], v[243:244]
	v_mul_f64 v[54:55], v[0:1], v[225:226]
	v_fma_f64 v[14:15], v[14:15], v[227:228], v[34:35]
	s_waitcnt vmcnt(0)
	v_mul_f64 v[58:59], v[92:93], v[70:71]
	v_add_f64 v[60:61], v[64:65], -v[167:168]
	v_fma_f64 v[34:35], v[0:1], v[223:224], v[38:39]
	v_fma_f64 v[8:9], v[56:57], v[227:228], -v[8:9]
	v_fma_f64 v[56:57], v[26:27], -0.5, v[52:53]
	v_mul_f64 v[0:1], v[6:7], v[70:71]
	v_add_f64 v[38:39], v[42:43], v[40:41]
	v_fma_f64 v[26:27], v[171:172], v[223:224], -v[54:55]
	v_fma_f64 v[6:7], v[6:7], v[68:69], v[58:59]
	v_add_f64 v[54:55], v[147:148], -v[78:79]
	v_add_f64 v[70:71], v[36:37], -v[40:41]
	v_fma_f64 v[12:13], v[74:75], v[219:220], -v[12:13]
	v_fma_f64 v[42:43], v[60:61], s[0:1], v[56:57]
	v_fma_f64 v[0:1], v[92:93], v[68:69], -v[0:1]
	v_add_f64 v[58:59], v[38:39], v[36:37]
	v_add_f64 v[38:39], v[239:240], -v[243:244]
	v_add_f64 v[68:69], v[239:240], v[36:37]
	v_fma_f64 v[56:57], v[60:61], s[10:11], v[56:57]
	v_add_f64 v[74:75], v[243:244], -v[239:240]
	v_add_f64 v[90:91], v[40:41], -v[36:37]
	v_fma_f64 v[42:43], v[54:55], s[18:19], v[42:43]
	v_add_f64 v[36:37], v[239:240], -v[36:37]
	v_add_f64 v[40:41], v[243:244], -v[40:41]
	v_add_f64 v[38:39], v[38:39], v[70:71]
	v_fma_f64 v[52:53], v[68:69], -0.5, v[52:53]
	v_add_f64 v[68:69], v[147:148], v[78:79]
	v_fma_f64 v[56:57], v[54:55], s[14:15], v[56:57]
	v_add_f64 v[171:172], v[241:242], -v[153:154]
	v_add_f64 v[175:176], v[173:174], -v[165:166]
	;; [unrolled: 1-line block ×4, first 2 shown]
	v_fma_f64 v[92:93], v[38:39], s[16:17], v[42:43]
	v_fma_f64 v[70:71], v[54:55], s[10:11], v[52:53]
	;; [unrolled: 1-line block ×3, first 2 shown]
	v_add_f64 v[54:55], v[231:232], v[64:65]
	v_fma_f64 v[68:69], v[68:69], -0.5, v[231:232]
	v_fma_f64 v[100:101], v[38:39], s[16:17], v[56:57]
	v_add_f64 v[56:57], v[64:65], v[167:168]
	v_add_f64 v[42:43], v[74:75], v[90:91]
	v_add_f64 v[74:75], v[167:168], -v[78:79]
	v_fma_f64 v[38:39], v[60:61], s[18:19], v[70:71]
	v_fma_f64 v[52:53], v[60:61], s[14:15], v[52:53]
	v_add_f64 v[54:55], v[54:55], v[147:148]
	v_fma_f64 v[60:61], v[36:37], s[10:11], v[68:69]
	v_add_f64 v[70:71], v[64:65], -v[147:148]
	v_fma_f64 v[68:69], v[36:37], s[0:1], v[68:69]
	v_fma_f64 v[56:57], v[56:57], -0.5, v[231:232]
	v_add_f64 v[64:65], v[147:148], -v[64:65]
	v_fma_f64 v[94:95], v[42:43], s[16:17], v[38:39]
	v_fma_f64 v[98:99], v[42:43], s[16:17], v[52:53]
	v_add_f64 v[38:39], v[54:55], v[78:79]
	v_fma_f64 v[42:43], v[40:41], s[14:15], v[60:61]
	v_add_f64 v[52:53], v[245:246], v[159:160]
	v_add_f64 v[54:55], v[70:71], v[74:75]
	v_fma_f64 v[60:61], v[40:41], s[18:19], v[68:69]
	v_fma_f64 v[68:69], v[40:41], s[0:1], v[56:57]
	v_add_f64 v[70:71], v[78:79], -v[167:168]
	v_fma_f64 v[40:41], v[40:41], s[10:11], v[56:57]
	v_add_f64 v[56:57], v[233:234], v[235:236]
	v_add_f64 v[74:75], v[241:242], -v[173:174]
	v_fma_f64 v[52:53], v[52:53], -0.5, v[233:234]
	v_add_f64 v[147:148], v[38:39], v[167:168]
	v_fma_f64 v[151:152], v[54:55], s[16:17], v[42:43]
	v_fma_f64 v[38:39], v[36:37], s[14:15], v[68:69]
	v_add_f64 v[42:43], v[64:65], v[70:71]
	v_fma_f64 v[36:37], v[36:37], s[18:19], v[40:41]
	v_add_f64 v[40:41], v[56:57], v[245:246]
	v_fma_f64 v[163:164], v[54:55], s[16:17], v[60:61]
	v_fma_f64 v[54:55], v[74:75], s[0:1], v[52:53]
	v_add_f64 v[56:57], v[153:154], -v[165:166]
	v_add_f64 v[60:61], v[235:236], -v[245:246]
	v_add_f64 v[64:65], v[247:248], -v[159:160]
	v_fma_f64 v[167:168], v[42:43], s[16:17], v[38:39]
	v_add_f64 v[68:69], v[153:154], v[165:166]
	v_fma_f64 v[169:170], v[42:43], s[16:17], v[36:37]
	v_add_f64 v[36:37], v[40:41], v[159:160]
	v_add_f64 v[42:43], v[241:242], v[173:174]
	;; [unrolled: 1-line block ×3, first 2 shown]
	v_fma_f64 v[40:41], v[56:57], s[18:19], v[54:55]
	v_add_f64 v[54:55], v[60:61], v[64:65]
	v_add_f64 v[64:65], v[235:236], -v[247:248]
	v_fma_f64 v[60:61], v[68:69], -0.5, v[237:238]
	v_fma_f64 v[52:53], v[74:75], s[10:11], v[52:53]
	v_add_f64 v[90:91], v[36:37], v[247:248]
	v_add_f64 v[36:37], v[245:246], -v[159:160]
	v_fma_f64 v[42:43], v[42:43], -0.5, v[237:238]
	v_fma_f64 v[38:39], v[38:39], -0.5, v[233:234]
	v_add_f64 v[70:71], v[245:246], -v[235:236]
	v_add_f64 v[183:184], v[237:238], v[241:242]
	v_fma_f64 v[78:79], v[64:65], s[10:11], v[60:61]
	v_fma_f64 v[52:53], v[56:57], s[14:15], v[52:53]
	v_add_f64 v[159:160], v[159:160], -v[247:248]
	v_fma_f64 v[60:61], v[64:65], s[0:1], v[60:61]
	v_fma_f64 v[177:178], v[36:37], s[0:1], v[42:43]
	;; [unrolled: 1-line block ×6, first 2 shown]
	v_add_f64 v[78:79], v[171:172], v[175:176]
	v_add_f64 v[175:176], v[179:180], v[181:182]
	;; [unrolled: 1-line block ×3, first 2 shown]
	v_fma_f64 v[171:172], v[64:65], s[14:15], v[177:178]
	v_fma_f64 v[42:43], v[64:65], s[18:19], v[42:43]
	;; [unrolled: 1-line block ×3, first 2 shown]
	v_add_f64 v[64:65], v[70:71], v[159:160]
	v_fma_f64 v[38:39], v[74:75], s[14:15], v[38:39]
	v_fma_f64 v[36:37], v[36:37], s[18:19], v[60:61]
	;; [unrolled: 1-line block ×6, first 2 shown]
	v_add_f64 v[74:75], v[153:154], v[165:166]
	v_fma_f64 v[52:53], v[54:55], s[16:17], v[52:53]
	v_fma_f64 v[54:55], v[64:65], s[16:17], v[68:69]
	;; [unrolled: 1-line block ×4, first 2 shown]
	v_mul_f64 v[60:61], v[56:57], s[18:19]
	v_mul_f64 v[64:65], v[70:71], s[0:1]
	;; [unrolled: 1-line block ×3, first 2 shown]
	v_add_f64 v[74:75], v[74:75], v[173:174]
	v_mul_f64 v[56:57], v[56:57], s[22:23]
	v_mul_f64 v[165:166], v[42:43], s[20:21]
	v_add_f64 v[179:180], v[145:146], v[139:140]
	v_mul_f64 v[153:154], v[68:69], s[18:19]
	v_add_f64 v[36:37], v[58:59], v[90:91]
	v_fma_f64 v[60:61], v[40:41], s[22:23], v[60:61]
	v_fma_f64 v[159:160], v[38:39], s[20:21], v[78:79]
	v_mul_f64 v[78:79], v[70:71], s[16:17]
	v_fma_f64 v[64:65], v[54:55], s[16:17], v[64:65]
	v_mul_f64 v[171:172], v[68:69], s[24:25]
	v_fma_f64 v[173:174], v[40:41], s[14:15], v[56:57]
	v_fma_f64 v[153:154], v[52:53], s[24:25], v[153:154]
	;; [unrolled: 1-line block ×3, first 2 shown]
	v_add_f64 v[38:39], v[147:148], v[74:75]
	v_add_f64 v[177:178], v[48:49], v[149:150]
	v_fma_f64 v[175:176], v[54:55], s[10:11], v[78:79]
	v_add_f64 v[90:91], v[58:59], -v[90:91]
	v_fma_f64 v[179:180], v[179:180], -0.5, v[48:49]
	v_add_f64 v[181:182], v[143:144], -v[161:162]
	v_add_f64 v[58:59], v[147:148], -v[74:75]
	v_add_f64 v[74:75], v[149:150], v[157:158]
	v_add_f64 v[42:43], v[92:93], v[60:61]
	;; [unrolled: 1-line block ×4, first 2 shown]
	v_fma_f64 v[171:172], v[52:53], s[14:15], v[171:172]
	v_add_f64 v[78:79], v[100:101], v[153:154]
	v_add_f64 v[40:41], v[151:152], v[173:174]
	;; [unrolled: 1-line block ×3, first 2 shown]
	v_add_f64 v[92:93], v[92:93], -v[60:61]
	v_add_f64 v[94:95], v[94:95], -v[64:65]
	v_add_f64 v[177:178], v[177:178], v[145:146]
	v_add_f64 v[98:99], v[98:99], -v[159:160]
	v_add_f64 v[100:101], v[100:101], -v[153:154]
	;; [unrolled: 1-line block ×4, first 2 shown]
	v_fma_f64 v[151:152], v[181:182], s[0:1], v[179:180]
	v_add_f64 v[153:154], v[141:142], -v[155:156]
	v_add_f64 v[159:160], v[149:150], -v[145:146]
	;; [unrolled: 1-line block ×3, first 2 shown]
	v_fma_f64 v[173:174], v[181:182], s[10:11], v[179:180]
	v_fma_f64 v[175:176], v[74:75], -0.5, v[48:49]
	v_add_f64 v[54:55], v[169:170], v[165:166]
	v_add_f64 v[56:57], v[163:164], v[171:172]
	;; [unrolled: 1-line block ×3, first 2 shown]
	v_add_f64 v[48:49], v[169:170], -v[165:166]
	v_add_f64 v[74:75], v[163:164], -v[171:172]
	v_fma_f64 v[151:152], v[153:154], s[18:19], v[151:152]
	v_add_f64 v[163:164], v[141:142], v[155:156]
	v_add_f64 v[159:160], v[159:160], v[167:168]
	v_fma_f64 v[165:166], v[153:154], s[14:15], v[173:174]
	v_fma_f64 v[167:168], v[153:154], s[10:11], v[175:176]
	v_add_f64 v[169:170], v[145:146], -v[149:150]
	v_add_f64 v[171:172], v[139:140], -v[157:158]
	v_fma_f64 v[153:154], v[153:154], s[0:1], v[175:176]
	v_add_f64 v[173:174], v[50:51], v[143:144]
	v_add_f64 v[147:148], v[147:148], v[157:158]
	v_fma_f64 v[163:164], v[163:164], -0.5, v[50:51]
	v_add_f64 v[149:150], v[149:150], -v[157:158]
	v_fma_f64 v[151:152], v[159:160], s[16:17], v[151:152]
	v_fma_f64 v[157:158], v[159:160], s[16:17], v[165:166]
	;; [unrolled: 1-line block ×3, first 2 shown]
	v_add_f64 v[165:166], v[169:170], v[171:172]
	v_add_f64 v[167:168], v[143:144], v[161:162]
	v_fma_f64 v[153:154], v[181:182], s[14:15], v[153:154]
	v_add_f64 v[169:170], v[173:174], v[141:142]
	v_fma_f64 v[171:172], v[149:150], s[10:11], v[163:164]
	v_add_f64 v[139:140], v[145:146], -v[139:140]
	v_add_f64 v[145:146], v[143:144], -v[141:142]
	;; [unrolled: 1-line block ×3, first 2 shown]
	v_fma_f64 v[163:164], v[149:150], s[0:1], v[163:164]
	v_fma_f64 v[50:51], v[167:168], -0.5, v[50:51]
	v_fma_f64 v[159:160], v[165:166], s[16:17], v[159:160]
	v_fma_f64 v[153:154], v[165:166], s[16:17], v[153:154]
	v_add_f64 v[165:166], v[169:170], v[155:156]
	v_add_f64 v[169:170], v[86:87], v[88:89]
	v_fma_f64 v[167:168], v[139:140], s[14:15], v[171:172]
	v_add_f64 v[145:146], v[145:146], v[173:174]
	v_fma_f64 v[163:164], v[139:140], s[18:19], v[163:164]
	v_fma_f64 v[171:172], v[139:140], s[0:1], v[50:51]
	v_add_f64 v[141:142], v[141:142], -v[143:144]
	v_add_f64 v[143:144], v[155:156], -v[161:162]
	v_fma_f64 v[50:51], v[139:140], s[10:11], v[50:51]
	v_fma_f64 v[155:156], v[169:170], -0.5, v[82:83]
	v_add_f64 v[169:170], v[80:81], -v[66:67]
	v_add_f64 v[139:140], v[82:83], v[84:85]
	v_add_f64 v[161:162], v[165:166], v[161:162]
	v_fma_f64 v[165:166], v[145:146], s[16:17], v[167:168]
	v_fma_f64 v[167:168], v[149:150], s[14:15], v[171:172]
	v_add_f64 v[141:142], v[141:142], v[143:144]
	v_fma_f64 v[143:144], v[145:146], s[16:17], v[163:164]
	v_fma_f64 v[50:51], v[149:150], s[18:19], v[50:51]
	;; [unrolled: 1-line block ×3, first 2 shown]
	v_add_f64 v[149:150], v[72:73], -v[76:77]
	v_add_f64 v[163:164], v[84:85], -v[86:87]
	;; [unrolled: 1-line block ×3, first 2 shown]
	v_add_f64 v[173:174], v[84:85], v[96:97]
	v_add_f64 v[175:176], v[72:73], v[76:77]
	;; [unrolled: 1-line block ×3, first 2 shown]
	v_fma_f64 v[167:168], v[141:142], s[16:17], v[167:168]
	v_fma_f64 v[50:51], v[141:142], s[16:17], v[50:51]
	;; [unrolled: 1-line block ×3, first 2 shown]
	v_add_f64 v[145:146], v[80:81], v[66:67]
	v_add_f64 v[163:164], v[163:164], v[171:172]
	v_fma_f64 v[82:83], v[173:174], -0.5, v[82:83]
	v_fma_f64 v[171:172], v[175:176], -0.5, v[62:63]
	v_add_f64 v[173:174], v[84:85], -v[96:97]
	v_add_f64 v[139:140], v[139:140], v[88:89]
	v_add_f64 v[175:176], v[86:87], -v[88:89]
	v_add_f64 v[84:85], v[86:87], -v[84:85]
	v_fma_f64 v[145:146], v[145:146], -0.5, v[62:63]
	v_fma_f64 v[2:3], v[185:186], v[199:200], -v[2:3]
	v_add_f64 v[179:180], v[80:81], -v[72:73]
	v_add_f64 v[181:182], v[66:67], -v[76:77]
	v_fma_f64 v[86:87], v[173:174], s[10:11], v[171:172]
	v_add_f64 v[139:140], v[139:140], v[96:97]
	v_add_f64 v[185:186], v[72:73], -v[80:81]
	v_add_f64 v[187:188], v[76:77], -v[66:67]
	v_fma_f64 v[183:184], v[175:176], s[0:1], v[145:146]
	v_add_f64 v[88:89], v[88:89], -v[96:97]
	v_add_f64 v[62:63], v[62:63], v[80:81]
	v_fma_f64 v[96:97], v[173:174], s[0:1], v[171:172]
	v_fma_f64 v[80:81], v[175:176], s[14:15], v[86:87]
	v_fma_f64 v[86:87], v[175:176], s[10:11], v[145:146]
	v_fma_f64 v[155:156], v[169:170], s[10:11], v[155:156]
	v_fma_f64 v[177:178], v[149:150], s[10:11], v[82:83]
	v_add_f64 v[145:146], v[179:180], v[181:182]
	v_fma_f64 v[171:172], v[173:174], s[14:15], v[183:184]
	v_add_f64 v[179:180], v[185:186], v[187:188]
	v_fma_f64 v[82:83], v[149:150], s[0:1], v[82:83]
	v_fma_f64 v[96:97], v[175:176], s[18:19], v[96:97]
	;; [unrolled: 1-line block ×4, first 2 shown]
	v_add_f64 v[62:63], v[62:63], v[72:73]
	v_fma_f64 v[72:73], v[169:170], s[18:19], v[177:178]
	v_fma_f64 v[80:81], v[145:146], s[16:17], v[80:81]
	v_add_f64 v[84:85], v[84:85], v[88:89]
	v_fma_f64 v[88:89], v[179:180], s[16:17], v[171:172]
	v_fma_f64 v[82:83], v[169:170], s[14:15], v[82:83]
	;; [unrolled: 1-line block ×5, first 2 shown]
	v_add_f64 v[62:63], v[62:63], v[76:77]
	v_fma_f64 v[76:77], v[163:164], s[16:17], v[155:156]
	v_mul_f64 v[145:146], v[80:81], s[18:19]
	v_fma_f64 v[72:73], v[84:85], s[16:17], v[72:73]
	v_mul_f64 v[149:150], v[88:89], s[0:1]
	;; [unrolled: 2-line block ×3, first 2 shown]
	v_mul_f64 v[155:156], v[96:97], s[18:19]
	v_mul_f64 v[80:81], v[80:81], s[22:23]
	v_mul_f64 v[88:89], v[88:89], s[16:17]
	v_fma_f64 v[145:146], v[141:142], s[22:23], v[145:146]
	v_mul_f64 v[86:87], v[86:87], s[20:21]
	v_fma_f64 v[149:150], v[72:73], s[16:17], v[149:150]
	v_add_f64 v[171:172], v[30:31], v[32:33]
	v_fma_f64 v[84:85], v[82:83], s[20:21], v[84:85]
	v_fma_f64 v[155:156], v[76:77], s[24:25], v[155:156]
	;; [unrolled: 1-line block ×3, first 2 shown]
	v_mul_f64 v[96:97], v[96:97], s[24:25]
	v_add_f64 v[62:63], v[62:63], v[66:67]
	v_add_f64 v[66:67], v[147:148], v[139:140]
	;; [unrolled: 1-line block ×4, first 2 shown]
	v_fma_f64 v[72:73], v[72:73], s[10:11], v[88:89]
	v_fma_f64 v[82:83], v[82:83], s[10:11], v[86:87]
	v_add_f64 v[86:87], v[153:154], v[84:85]
	v_add_f64 v[88:89], v[157:158], v[155:156]
	v_add_f64 v[169:170], v[165:166], v[80:81]
	v_add_f64 v[139:140], v[147:148], -v[139:140]
	v_add_f64 v[145:146], v[151:152], -v[145:146]
	;; [unrolled: 1-line block ×3, first 2 shown]
	v_add_f64 v[149:150], v[44:45], v[28:29]
	v_fma_f64 v[151:152], v[171:172], -0.5, v[44:45]
	v_add_f64 v[159:160], v[20:21], -v[26:27]
	v_add_f64 v[84:85], v[153:154], -v[84:85]
	;; [unrolled: 1-line block ×4, first 2 shown]
	v_add_f64 v[80:81], v[28:29], v[34:35]
	v_fma_f64 v[76:77], v[76:77], s[14:15], v[96:97]
	v_add_f64 v[96:97], v[161:162], v[62:63]
	v_add_f64 v[173:174], v[167:168], v[72:73]
	v_add_f64 v[62:63], v[161:162], -v[62:63]
	v_add_f64 v[72:73], v[167:168], -v[72:73]
	v_add_f64 v[149:150], v[149:150], v[30:31]
	v_fma_f64 v[157:158], v[159:160], s[0:1], v[151:152]
	v_add_f64 v[161:162], v[24:25], -v[22:23]
	v_add_f64 v[165:166], v[28:29], -v[30:31]
	;; [unrolled: 1-line block ×3, first 2 shown]
	v_fma_f64 v[151:152], v[159:160], s[10:11], v[151:152]
	v_fma_f64 v[44:45], v[80:81], -0.5, v[44:45]
	v_add_f64 v[177:178], v[143:144], v[76:77]
	v_add_f64 v[143:144], v[143:144], -v[76:77]
	v_add_f64 v[76:77], v[24:25], v[22:23]
	v_add_f64 v[175:176], v[50:51], v[82:83]
	v_add_f64 v[171:172], v[50:51], -v[82:83]
	v_add_f64 v[50:51], v[149:150], v[32:33]
	v_fma_f64 v[80:81], v[161:162], s[18:19], v[157:158]
	v_add_f64 v[82:83], v[165:166], v[167:168]
	v_fma_f64 v[149:150], v[161:162], s[14:15], v[151:152]
	v_fma_f64 v[151:152], v[161:162], s[10:11], v[44:45]
	v_add_f64 v[167:168], v[46:47], v[20:21]
	v_add_f64 v[157:158], v[30:31], -v[28:29]
	v_add_f64 v[165:166], v[32:33], -v[34:35]
	v_fma_f64 v[76:77], v[76:77], -0.5, v[46:47]
	v_add_f64 v[28:29], v[28:29], -v[34:35]
	v_add_f64 v[34:35], v[50:51], v[34:35]
	v_fma_f64 v[50:51], v[82:83], s[16:17], v[80:81]
	v_fma_f64 v[80:81], v[82:83], s[16:17], v[149:150]
	;; [unrolled: 1-line block ×4, first 2 shown]
	v_add_f64 v[151:152], v[167:168], v[24:25]
	v_add_f64 v[149:150], v[157:158], v[165:166]
	v_fma_f64 v[157:158], v[28:29], s[10:11], v[76:77]
	v_add_f64 v[30:31], v[30:31], -v[32:33]
	v_add_f64 v[32:33], v[20:21], -v[24:25]
	;; [unrolled: 1-line block ×3, first 2 shown]
	v_fma_f64 v[76:77], v[28:29], s[0:1], v[76:77]
	v_add_f64 v[165:166], v[20:21], v[26:27]
	v_fma_f64 v[44:45], v[159:160], s[14:15], v[44:45]
	v_add_f64 v[151:152], v[151:152], v[22:23]
	v_add_f64 v[159:160], v[16:17], v[14:15]
	v_fma_f64 v[157:158], v[30:31], s[14:15], v[157:158]
	v_fma_f64 v[82:83], v[149:150], s[16:17], v[82:83]
	v_add_f64 v[32:33], v[32:33], v[161:162]
	v_fma_f64 v[76:77], v[30:31], s[18:19], v[76:77]
	v_fma_f64 v[46:47], v[165:166], -0.5, v[46:47]
	v_fma_f64 v[44:45], v[149:150], s[16:17], v[44:45]
	v_add_f64 v[149:150], v[151:152], v[26:27]
	v_add_f64 v[151:152], v[18:19], v[10:11]
	v_fma_f64 v[159:160], v[159:160], -0.5, v[18:19]
	v_add_f64 v[161:162], v[4:5], -v[0:1]
	v_fma_f64 v[157:158], v[32:33], s[16:17], v[157:158]
	v_fma_f64 v[32:33], v[32:33], s[16:17], v[76:77]
	;; [unrolled: 1-line block ×3, first 2 shown]
	v_add_f64 v[20:21], v[24:25], -v[20:21]
	v_add_f64 v[22:23], v[22:23], -v[26:27]
	v_fma_f64 v[24:25], v[30:31], s[10:11], v[46:47]
	v_add_f64 v[165:166], v[10:11], -v[16:17]
	v_add_f64 v[167:168], v[6:7], -v[14:15]
	v_add_f64 v[26:27], v[151:152], v[16:17]
	v_fma_f64 v[30:31], v[161:162], s[0:1], v[159:160]
	v_add_f64 v[46:47], v[12:13], -v[8:9]
	v_add_f64 v[151:152], v[10:11], v[6:7]
	v_add_f64 v[179:180], v[12:13], v[8:9]
	v_fma_f64 v[76:77], v[28:29], s[14:15], v[76:77]
	v_add_f64 v[20:21], v[20:21], v[22:23]
	v_fma_f64 v[22:23], v[28:29], s[18:19], v[24:25]
	v_add_f64 v[28:29], v[165:166], v[167:168]
	v_add_f64 v[165:166], v[4:5], v[0:1]
	v_add_f64 v[24:25], v[26:27], v[14:15]
	v_fma_f64 v[18:19], v[151:152], -0.5, v[18:19]
	v_fma_f64 v[26:27], v[46:47], s[18:19], v[30:31]
	v_fma_f64 v[30:31], v[179:180], -0.5, v[2:3]
	v_add_f64 v[151:152], v[10:11], -v[6:7]
	v_add_f64 v[179:180], v[16:17], -v[14:15]
	v_fma_f64 v[76:77], v[20:21], s[16:17], v[76:77]
	v_fma_f64 v[165:166], v[165:166], -0.5, v[2:3]
	v_fma_f64 v[20:21], v[20:21], s[16:17], v[22:23]
	v_add_f64 v[22:23], v[24:25], v[6:7]
	v_fma_f64 v[24:25], v[28:29], s[16:17], v[26:27]
	v_add_f64 v[10:11], v[16:17], -v[10:11]
	v_fma_f64 v[26:27], v[151:152], s[10:11], v[30:31]
	v_add_f64 v[16:17], v[4:5], -v[12:13]
	v_add_f64 v[181:182], v[0:1], -v[8:9]
	v_add_f64 v[2:3], v[2:3], v[4:5]
	v_fma_f64 v[183:184], v[179:180], s[0:1], v[165:166]
	v_add_f64 v[4:5], v[12:13], -v[4:5]
	v_add_f64 v[185:186], v[8:9], -v[0:1]
	v_fma_f64 v[165:166], v[179:180], s[10:11], v[165:166]
	v_fma_f64 v[30:31], v[151:152], s[0:1], v[30:31]
	;; [unrolled: 1-line block ×3, first 2 shown]
	v_add_f64 v[16:17], v[16:17], v[181:182]
	v_fma_f64 v[159:160], v[161:162], s[10:11], v[159:160]
	v_fma_f64 v[167:168], v[46:47], s[10:11], v[18:19]
	v_add_f64 v[6:7], v[14:15], -v[6:7]
	v_fma_f64 v[14:15], v[46:47], s[0:1], v[18:19]
	v_add_f64 v[2:3], v[2:3], v[12:13]
	v_fma_f64 v[12:13], v[151:152], s[14:15], v[183:184]
	v_add_f64 v[4:5], v[4:5], v[185:186]
	v_fma_f64 v[18:19], v[151:152], s[18:19], v[165:166]
	v_fma_f64 v[30:31], v[179:180], s[18:19], v[30:31]
	;; [unrolled: 1-line block ×5, first 2 shown]
	v_add_f64 v[6:7], v[10:11], v[6:7]
	v_fma_f64 v[10:11], v[161:162], s[14:15], v[14:15]
	v_fma_f64 v[12:13], v[4:5], s[16:17], v[12:13]
	;; [unrolled: 1-line block ×4, first 2 shown]
	v_mul_f64 v[16:17], v[26:27], s[18:19]
	v_add_f64 v[2:3], v[2:3], v[8:9]
	v_fma_f64 v[8:9], v[28:29], s[16:17], v[159:160]
	v_fma_f64 v[18:19], v[6:7], s[16:17], v[167:168]
	;; [unrolled: 1-line block ×3, first 2 shown]
	v_mul_f64 v[10:11], v[12:13], s[0:1]
	v_mul_f64 v[28:29], v[4:5], s[0:1]
	;; [unrolled: 1-line block ×3, first 2 shown]
	v_fma_f64 v[16:17], v[24:25], s[22:23], v[16:17]
	v_mul_f64 v[26:27], v[26:27], s[22:23]
	v_mul_f64 v[12:13], v[12:13], s[16:17]
	;; [unrolled: 1-line block ×4, first 2 shown]
	v_fma_f64 v[10:11], v[18:19], s[16:17], v[10:11]
	v_fma_f64 v[28:29], v[6:7], s[20:21], v[28:29]
	;; [unrolled: 1-line block ×3, first 2 shown]
	v_add_f64 v[0:1], v[2:3], v[0:1]
	v_add_f64 v[2:3], v[34:35], v[22:23]
	;; [unrolled: 1-line block ×3, first 2 shown]
	v_fma_f64 v[24:25], v[24:25], s[14:15], v[26:27]
	v_fma_f64 v[12:13], v[18:19], s[10:11], v[12:13]
	;; [unrolled: 1-line block ×4, first 2 shown]
	v_add_f64 v[8:9], v[82:83], v[10:11]
	v_add_f64 v[14:15], v[44:45], v[28:29]
	;; [unrolled: 1-line block ×3, first 2 shown]
	v_add_f64 v[22:23], v[34:35], -v[22:23]
	v_add_f64 v[16:17], v[50:51], -v[16:17]
	;; [unrolled: 1-line block ×3, first 2 shown]
	v_add_f64 v[151:152], v[149:150], v[0:1]
	v_add_f64 v[26:27], v[44:45], -v[28:29]
	v_add_f64 v[28:29], v[80:81], -v[30:31]
	;; [unrolled: 1-line block ×3, first 2 shown]
	v_mul_u32_u24_e32 v0, 0x2d0, v133
	v_lshlrev_b32_sdwa v1, v131, v134 dst_sel:DWORD dst_unused:UNUSED_PAD src0_sel:DWORD src1_sel:BYTE_0
	v_add3_u32 v51, 0, v0, v1
	v_mul_u32_u24_e32 v0, 0x2d0, v135
	v_lshlrev_b32_sdwa v1, v131, v136 dst_sel:DWORD dst_unused:UNUSED_PAD src0_sel:DWORD src1_sel:BYTE_0
	s_barrier
	ds_write2_b64 v51, v[36:37], v[42:43] offset1:9
	ds_write2_b64 v51, v[68:69], v[70:71] offset0:18 offset1:27
	ds_write2_b64 v51, v[78:79], v[90:91] offset0:36 offset1:45
	ds_write2_b64 v51, v[92:93], v[94:95] offset0:54 offset1:63
	ds_write2_b64 v51, v[98:99], v[100:101] offset0:72 offset1:81
	v_add3_u32 v71, 0, v0, v1
	v_mul_u32_u24_e32 v0, 0x2d0, v137
	v_lshlrev_b32_e32 v1, 3, v138
	v_add3_u32 v92, 0, v0, v1
	v_add_u32_e32 v70, 0x1000, v103
	v_add_u32_e32 v50, 0x1800, v103
	s_movk_i32 s0, 0x5a
	v_add_f64 v[159:160], v[157:158], v[24:25]
	v_add_f64 v[161:162], v[76:77], v[12:13]
	v_add_f64 v[165:166], v[20:21], v[4:5]
	v_add_f64 v[167:168], v[32:33], v[6:7]
	v_add_f64 v[44:45], v[157:158], -v[24:25]
	v_add_f64 v[149:150], v[76:77], -v[12:13]
	;; [unrolled: 1-line block ×4, first 2 shown]
	ds_write2_b64 v71, v[66:67], v[163:164] offset1:9
	ds_write2_b64 v71, v[141:142], v[86:87] offset0:18 offset1:27
	ds_write2_b64 v71, v[88:89], v[139:140] offset0:36 offset1:45
	ds_write2_b64 v71, v[145:146], v[147:148] offset0:54 offset1:63
	ds_write2_b64 v71, v[84:85], v[153:154] offset0:72 offset1:81
	ds_write2_b64 v92, v[2:3], v[46:47] offset1:9
	ds_write2_b64 v92, v[8:9], v[14:15] offset0:18 offset1:27
	ds_write2_b64 v92, v[18:19], v[22:23] offset0:36 offset1:45
	;; [unrolled: 1-line block ×4, first 2 shown]
	s_waitcnt lgkmcnt(0)
	s_barrier
	ds_read2_b64 v[66:69], v105 offset0:56 offset1:164
	ds_read2_b64 v[12:15], v116 offset0:104 offset1:212
	;; [unrolled: 1-line block ×9, first 2 shown]
	ds_read_b64 v[42:43], v103
	ds_read_b64 v[36:37], v106
	;; [unrolled: 1-line block ×4, first 2 shown]
	ds_read2_b64 v[16:19], v50 offset0:96 offset1:204
	ds_read2_b64 v[8:11], v119 offset0:24 offset1:132
	;; [unrolled: 1-line block ×3, first 2 shown]
	ds_read_b64 v[100:101], v130
	ds_read_b64 v[28:29], v129
	s_waitcnt lgkmcnt(0)
	s_barrier
	ds_write2_b64 v51, v[38:39], v[40:41] offset1:9
	ds_write2_b64 v51, v[52:53], v[54:55] offset0:18 offset1:27
	ds_write2_b64 v51, v[56:57], v[58:59] offset0:36 offset1:45
	ds_write2_b64 v51, v[60:61], v[64:65] offset0:54 offset1:63
	ds_write2_b64 v51, v[48:49], v[74:75] offset0:72 offset1:81
	ds_write2_b64 v71, v[96:97], v[169:170] offset1:9
	ds_write2_b64 v71, v[173:174], v[175:176] offset0:18 offset1:27
	ds_write2_b64 v71, v[177:178], v[62:63] offset0:36 offset1:45
	ds_write2_b64 v71, v[155:156], v[72:73] offset0:54 offset1:63
	ds_write2_b64 v71, v[171:172], v[143:144] offset0:72 offset1:81
	;; [unrolled: 5-line block ×3, first 2 shown]
	v_add_u32_e32 v34, 0xffffffa6, v122
	v_cmp_gt_u32_e64 s[0:1], s0, v122
	v_cndmask_b32_e64 v38, v34, v122, s[0:1]
	v_mul_i32_i24_e32 v52, 5, v38
	v_mov_b32_e32 v53, 0
	v_lshlrev_b64 v[34:35], 4, v[52:53]
	v_mov_b32_e32 v39, s9
	v_add_co_u32_e64 v34, s[0:1], s8, v34
	v_addc_co_u32_e64 v35, s[0:1], v39, v35, s[0:1]
	s_waitcnt lgkmcnt(0)
	s_barrier
	global_load_dwordx4 v[54:57], v[34:35], off offset:1392
	global_load_dwordx4 v[58:61], v[34:35], off offset:1408
	global_load_dwordx4 v[62:65], v[34:35], off offset:1424
	global_load_dwordx4 v[71:74], v[34:35], off offset:1440
	s_movk_i32 s0, 0xb7
	v_mul_lo_u16_sdwa v39, v123, s0 dst_sel:DWORD dst_unused:UNUSED_PAD src0_sel:BYTE_0 src1_sel:DWORD
	v_lshrrev_b16_e32 v39, 14, v39
	global_load_dwordx4 v[92:95], v[34:35], off offset:1456
	v_mul_lo_u16_e32 v34, 0x5a, v39
	v_sub_u16_e32 v40, v123, v34
	v_mul_u32_u24_sdwa v34, v40, v132 dst_sel:DWORD dst_unused:UNUSED_PAD src0_sel:BYTE_0 src1_sel:DWORD
	v_lshlrev_b32_e32 v34, 4, v34
	global_load_dwordx4 v[96:99], v34, s[8:9] offset:1392
	global_load_dwordx4 v[132:135], v34, s[8:9] offset:1408
	;; [unrolled: 1-line block ×3, first 2 shown]
	s_movk_i32 s0, 0x2d83
	global_load_dwordx4 v[140:143], v34, s[8:9] offset:1440
	global_load_dwordx4 v[144:147], v34, s[8:9] offset:1456
	v_mul_u32_u24_sdwa v34, v124, s0 dst_sel:DWORD dst_unused:UNUSED_PAD src0_sel:WORD_0 src1_sel:DWORD
	v_lshrrev_b32_e32 v41, 20, v34
	v_mul_lo_u16_e32 v34, 0x5a, v41
	v_sub_u16_e32 v44, v124, v34
	v_mul_u32_u24_e32 v34, 5, v44
	v_lshlrev_b32_e32 v46, 4, v34
	ds_read_b64 v[47:48], v130
	global_load_dwordx4 v[148:151], v46, s[8:9] offset:1408
	global_load_dwordx4 v[152:155], v46, s[8:9] offset:1392
	ds_read2_b64 v[156:159], v105 offset0:56 offset1:164
	ds_read2_b64 v[160:163], v116 offset0:104 offset1:212
	ds_read2_b64 v[164:167], v104 offset0:112 offset1:220
	ds_read2_b64 v[168:171], v117 offset0:32 offset1:140
	ds_read2_b64 v[172:175], v70 offset0:136 offset1:244
	global_load_dwordx4 v[176:179], v46, s[8:9] offset:1440
	global_load_dwordx4 v[180:183], v46, s[8:9] offset:1424
	v_mul_u32_u24_sdwa v45, v125, s0 dst_sel:DWORD dst_unused:UNUSED_PAD src0_sel:WORD_0 src1_sel:DWORD
	v_lshrrev_b32_e32 v45, 20, v45
	v_mul_lo_u16_e32 v49, 0x5a, v45
	ds_read2_b64 v[184:187], v109 offset0:64 offset1:172
	ds_read2_b64 v[188:191], v108 offset0:120 offset1:228
	ds_read_b64 v[34:35], v129
	global_load_dwordx4 v[192:195], v46, s[8:9] offset:1456
	v_sub_u16_e32 v46, v125, v49
	v_mul_u32_u24_e32 v49, 5, v46
	v_lshlrev_b32_e32 v49, 4, v49
	global_load_dwordx4 v[196:199], v49, s[8:9] offset:1392
	ds_read2_b64 v[200:203], v112 offset0:16 offset1:124
	global_load_dwordx4 v[204:207], v49, s[8:9] offset:1424
	global_load_dwordx4 v[208:211], v49, s[8:9] offset:1408
	ds_read2_b64 v[212:215], v113 offset0:72 offset1:180
	s_movk_i32 s10, 0x2000
	s_waitcnt vmcnt(17) lgkmcnt(10)
	v_mul_f64 v[51:52], v[47:48], v[56:57]
	v_mul_f64 v[56:57], v[100:101], v[56:57]
	s_waitcnt vmcnt(16) lgkmcnt(9)
	v_mul_f64 v[228:229], v[156:157], v[60:61]
	v_mul_f64 v[60:61], v[66:67], v[60:61]
	;; [unrolled: 3-line block ×3, first 2 shown]
	s_waitcnt vmcnt(13) lgkmcnt(6)
	v_mul_f64 v[234:235], v[170:171], v[94:95]
	v_fma_f64 v[51:52], v[100:101], v[54:55], v[51:52]
	v_fma_f64 v[100:101], v[47:48], v[54:55], -v[56:57]
	v_mul_u32_u24_sdwa v47, v126, s0 dst_sel:DWORD dst_unused:UNUSED_PAD src0_sel:WORD_0 src1_sel:DWORD
	v_lshrrev_b32_e32 v47, 20, v47
	v_mul_lo_u16_e32 v48, 0x5a, v47
	v_sub_u16_e32 v48, v126, v48
	global_load_dwordx4 v[54:57], v49, s[8:9] offset:1440
	global_load_dwordx4 v[216:219], v49, s[8:9] offset:1456
	v_mul_u32_u24_e32 v49, 5, v48
	v_lshlrev_b32_e32 v49, 4, v49
	global_load_dwordx4 v[220:223], v49, s[8:9] offset:1408
	global_load_dwordx4 v[224:227], v49, s[8:9] offset:1392
	v_fma_f64 v[228:229], v[66:67], v[58:59], v[228:229]
	v_fma_f64 v[156:157], v[156:157], v[58:59], -v[60:61]
	global_load_dwordx4 v[58:61], v49, s[8:9] offset:1440
	global_load_dwordx4 v[64:67], v49, s[8:9] offset:1424
	v_fma_f64 v[14:15], v[14:15], v[62:63], v[230:231]
	v_mul_f64 v[230:231], v[164:165], v[73:74]
	v_mul_f64 v[73:74], v[76:77], v[73:74]
	;; [unrolled: 1-line block ×3, first 2 shown]
	v_fma_f64 v[62:63], v[162:163], v[62:63], -v[232:233]
	s_waitcnt vmcnt(18) lgkmcnt(5)
	v_mul_f64 v[162:163], v[172:173], v[98:99]
	v_mul_f64 v[98:99], v[80:81], v[98:99]
	s_waitcnt vmcnt(17)
	v_mul_f64 v[232:233], v[158:159], v[134:135]
	v_fma_f64 v[2:3], v[2:3], v[92:93], v[234:235]
	v_fma_f64 v[230:231], v[76:77], v[71:72], v[230:231]
	v_fma_f64 v[164:165], v[164:165], v[71:72], -v[73:74]
	global_load_dwordx4 v[71:74], v49, s[8:9] offset:1456
	v_fma_f64 v[170:171], v[170:171], v[92:93], -v[94:95]
	v_fma_f64 v[80:81], v[80:81], v[96:97], v[162:163]
	v_fma_f64 v[162:163], v[172:173], v[96:97], -v[98:99]
	v_fma_f64 v[172:173], v[68:69], v[132:133], v[232:233]
	v_mul_f64 v[68:69], v[68:69], v[134:135]
	s_waitcnt vmcnt(17) lgkmcnt(4)
	v_mul_f64 v[75:76], v[184:185], v[138:139]
	v_mul_f64 v[92:93], v[84:85], v[138:139]
	s_waitcnt vmcnt(16)
	v_mul_f64 v[96:97], v[166:167], v[142:143]
	v_mul_f64 v[98:99], v[78:79], v[142:143]
	s_waitcnt vmcnt(15)
	v_mul_f64 v[142:143], v[88:89], v[146:147]
	ds_read_b64 v[134:135], v103
	ds_read_b64 v[138:139], v106
	;; [unrolled: 1-line block ×4, first 2 shown]
	s_movk_i32 s0, 0x59
	v_fma_f64 v[68:69], v[158:159], v[132:133], -v[68:69]
	v_fma_f64 v[84:85], v[84:85], v[136:137], v[75:76]
	v_fma_f64 v[132:133], v[184:185], v[136:137], -v[92:93]
	s_waitcnt lgkmcnt(7)
	v_mul_f64 v[136:137], v[188:189], v[146:147]
	s_waitcnt vmcnt(13)
	v_mul_f64 v[158:159], v[174:175], v[154:155]
	v_mul_f64 v[154:155], v[82:83], v[154:155]
	ds_read2_b64 v[92:95], v50 offset0:96 offset1:204
	v_fma_f64 v[146:147], v[78:79], v[140:141], v[96:97]
	v_fma_f64 v[140:141], v[166:167], v[140:141], -v[98:99]
	s_waitcnt vmcnt(9)
	v_mul_f64 v[166:167], v[16:17], v[198:199]
	ds_read2_b64 v[75:78], v119 offset0:24 offset1:132
	v_fma_f64 v[88:89], v[88:89], v[144:145], v[136:137]
	v_fma_f64 v[136:137], v[188:189], v[144:145], -v[142:143]
	s_waitcnt lgkmcnt(7)
	v_mul_f64 v[142:143], v[200:201], v[150:151]
	v_mul_f64 v[144:145], v[24:25], v[150:151]
	v_fma_f64 v[82:83], v[82:83], v[152:153], v[158:159]
	s_waitcnt lgkmcnt(6)
	v_mul_f64 v[158:159], v[212:213], v[178:179]
	v_mul_f64 v[150:151], v[186:187], v[182:183]
	v_fma_f64 v[152:153], v[174:175], v[152:153], -v[154:155]
	v_mul_f64 v[154:155], v[86:87], v[182:183]
	s_waitcnt vmcnt(7)
	v_mul_f64 v[174:175], v[202:203], v[210:211]
	v_fma_f64 v[24:25], v[24:25], v[148:149], v[142:143]
	v_fma_f64 v[142:143], v[200:201], v[148:149], -v[144:145]
	v_mul_f64 v[144:145], v[20:21], v[178:179]
	v_fma_f64 v[20:21], v[20:21], v[176:177], v[158:159]
	s_waitcnt lgkmcnt(1)
	v_mul_f64 v[158:159], v[92:93], v[198:199]
	v_fma_f64 v[86:87], v[86:87], v[180:181], v[150:151]
	v_mul_f64 v[148:149], v[190:191], v[194:195]
	v_mul_f64 v[150:151], v[90:91], v[194:195]
	v_fma_f64 v[92:93], v[92:93], v[196:197], -v[166:167]
	ds_read2_b64 v[96:99], v127 offset0:80 offset1:188
	v_fma_f64 v[144:145], v[212:213], v[176:177], -v[144:145]
	s_waitcnt lgkmcnt(1)
	v_mul_f64 v[176:177], v[75:76], v[206:207]
	v_fma_f64 v[16:17], v[16:17], v[196:197], v[158:159]
	v_mul_f64 v[158:159], v[8:9], v[206:207]
	v_fma_f64 v[90:91], v[90:91], v[192:193], v[148:149]
	v_fma_f64 v[148:149], v[190:191], v[192:193], -v[150:151]
	v_mul_f64 v[150:151], v[26:27], v[210:211]
	v_fma_f64 v[26:27], v[26:27], v[208:209], v[174:175]
	v_fma_f64 v[154:155], v[186:187], v[180:181], -v[154:155]
	v_fma_f64 v[8:9], v[8:9], v[204:205], v[176:177]
	v_cmp_lt_u32_e64 s[0:1], s0, v122
	v_fma_f64 v[75:76], v[75:76], v[204:205], -v[158:159]
	s_waitcnt vmcnt(0) lgkmcnt(0)
	s_barrier
	v_fma_f64 v[150:151], v[202:203], v[208:209], -v[150:151]
	v_mul_f64 v[166:167], v[214:215], v[56:57]
	v_mul_f64 v[56:57], v[22:23], v[56:57]
	;; [unrolled: 1-line block ×5, first 2 shown]
	v_fma_f64 v[22:23], v[22:23], v[54:55], v[166:167]
	v_fma_f64 v[54:55], v[214:215], v[54:55], -v[56:57]
	v_mul_f64 v[56:57], v[18:19], v[226:227]
	v_mul_f64 v[166:167], v[160:161], v[222:223]
	v_fma_f64 v[18:19], v[18:19], v[224:225], v[158:159]
	v_mul_f64 v[158:159], v[77:78], v[66:67]
	v_mul_f64 v[66:67], v[10:11], v[66:67]
	v_fma_f64 v[4:5], v[4:5], v[216:217], v[174:175]
	v_mul_f64 v[174:175], v[12:13], v[222:223]
	v_fma_f64 v[96:97], v[96:97], v[216:217], -v[176:177]
	v_fma_f64 v[56:57], v[94:95], v[224:225], -v[56:57]
	v_fma_f64 v[12:13], v[12:13], v[220:221], v[166:167]
	v_mul_f64 v[94:95], v[168:169], v[60:61]
	v_mul_f64 v[60:61], v[0:1], v[60:61]
	v_add_f64 v[166:167], v[228:229], v[230:231]
	v_fma_f64 v[10:11], v[10:11], v[64:65], v[158:159]
	v_fma_f64 v[64:65], v[77:78], v[64:65], -v[66:67]
	v_add_f64 v[77:78], v[62:63], v[170:171]
	v_add_f64 v[158:159], v[14:15], v[2:3]
	v_fma_f64 v[160:161], v[160:161], v[220:221], -v[174:175]
	v_fma_f64 v[0:1], v[0:1], v[58:59], v[94:95]
	v_fma_f64 v[58:59], v[168:169], v[58:59], -v[60:61]
	v_add_f64 v[60:61], v[42:43], v[228:229]
	v_fma_f64 v[42:43], v[166:167], -0.5, v[42:43]
	v_add_f64 v[94:95], v[156:157], -v[164:165]
	v_fma_f64 v[77:78], v[77:78], -0.5, v[100:101]
	v_add_f64 v[166:167], v[14:15], -v[2:3]
	v_mul_f64 v[66:67], v[98:99], v[73:74]
	v_fma_f64 v[158:159], v[158:159], -0.5, v[51:52]
	v_add_f64 v[174:175], v[62:63], -v[170:171]
	v_add_f64 v[14:15], v[51:52], v[14:15]
	v_add_f64 v[60:61], v[60:61], v[230:231]
	v_fma_f64 v[168:169], v[94:95], s[4:5], v[42:43]
	v_fma_f64 v[42:43], v[94:95], s[6:7], v[42:43]
	;; [unrolled: 1-line block ×5, first 2 shown]
	v_mul_f64 v[6:7], v[6:7], v[73:74]
	v_add_f64 v[73:74], v[156:157], v[164:165]
	v_add_f64 v[156:157], v[134:135], v[156:157]
	v_fma_f64 v[51:52], v[174:175], s[4:5], v[158:159]
	v_fma_f64 v[158:159], v[174:175], s[6:7], v[158:159]
	v_mul_f64 v[166:167], v[94:95], s[4:5]
	v_mul_f64 v[174:175], v[77:78], s[4:5]
	v_add_f64 v[62:63], v[100:101], v[62:63]
	v_mul_f64 v[77:78], v[77:78], -0.5
	v_add_f64 v[2:3], v[14:15], v[2:3]
	v_fma_f64 v[73:74], v[73:74], -0.5, v[134:135]
	v_add_f64 v[134:135], v[228:229], -v[230:231]
	v_add_f64 v[100:101], v[156:157], v[164:165]
	v_mul_f64 v[94:95], v[94:95], 0.5
	v_fma_f64 v[14:15], v[51:52], 0.5, v[166:167]
	v_fma_f64 v[164:165], v[158:159], -0.5, v[174:175]
	v_add_f64 v[62:63], v[62:63], v[170:171]
	v_fma_f64 v[77:78], v[158:159], s[6:7], v[77:78]
	v_fma_f64 v[6:7], v[98:99], v[71:72], -v[6:7]
	v_add_f64 v[71:72], v[60:61], v[2:3]
	v_add_f64 v[158:159], v[172:173], v[146:147]
	v_add_f64 v[2:3], v[60:61], -v[2:3]
	v_add_f64 v[60:61], v[132:133], v[136:137]
	v_fma_f64 v[156:157], v[134:135], s[6:7], v[73:74]
	v_fma_f64 v[73:74], v[134:135], s[4:5], v[73:74]
	v_fma_f64 v[51:52], v[51:52], s[6:7], v[94:95]
	v_add_f64 v[94:95], v[168:169], v[14:15]
	v_add_f64 v[98:99], v[42:43], v[164:165]
	;; [unrolled: 1-line block ×3, first 2 shown]
	v_add_f64 v[14:15], v[168:169], -v[14:15]
	v_add_f64 v[42:43], v[42:43], -v[164:165]
	v_add_f64 v[164:165], v[36:37], v[172:173]
	v_fma_f64 v[36:37], v[158:159], -0.5, v[36:37]
	v_add_f64 v[158:159], v[68:69], -v[140:141]
	v_add_f64 v[168:169], v[84:85], v[88:89]
	v_add_f64 v[100:101], v[100:101], -v[62:63]
	v_fma_f64 v[60:61], v[60:61], -0.5, v[162:163]
	v_add_f64 v[62:63], v[84:85], -v[88:89]
	v_add_f64 v[166:167], v[156:157], v[51:52]
	v_add_f64 v[51:52], v[156:157], -v[51:52]
	v_add_f64 v[156:157], v[164:165], v[146:147]
	v_add_f64 v[164:165], v[68:69], v[140:141]
	v_fma_f64 v[174:175], v[158:159], s[4:5], v[36:37]
	v_fma_f64 v[168:169], v[168:169], -0.5, v[80:81]
	v_add_f64 v[176:177], v[132:133], -v[136:137]
	v_fma_f64 v[36:37], v[158:159], s[6:7], v[36:37]
	v_fma_f64 v[158:159], v[62:63], s[6:7], v[60:61]
	;; [unrolled: 1-line block ×3, first 2 shown]
	v_add_f64 v[79:80], v[80:81], v[84:85]
	v_add_f64 v[62:63], v[138:139], v[68:69]
	v_fma_f64 v[68:69], v[164:165], -0.5, v[138:139]
	v_add_f64 v[138:139], v[172:173], -v[146:147]
	v_fma_f64 v[84:85], v[176:177], s[4:5], v[168:169]
	v_fma_f64 v[146:147], v[176:177], s[6:7], v[168:169]
	v_add_f64 v[132:133], v[162:163], v[132:133]
	v_mul_f64 v[168:169], v[60:61], s[4:5]
	v_mul_f64 v[60:61], v[60:61], -0.5
	v_add_f64 v[79:80], v[79:80], v[88:89]
	v_add_f64 v[170:171], v[73:74], v[77:78]
	v_mul_f64 v[164:165], v[158:159], s[4:5]
	v_add_f64 v[62:63], v[62:63], v[140:141]
	v_mul_f64 v[140:141], v[158:159], 0.5
	v_add_f64 v[132:133], v[132:133], v[136:137]
	v_fma_f64 v[162:163], v[146:147], -0.5, v[168:169]
	v_fma_f64 v[60:61], v[146:147], s[6:7], v[60:61]
	v_add_f64 v[136:137], v[73:74], -v[77:78]
	v_add_f64 v[73:74], v[156:157], v[79:80]
	v_add_f64 v[146:147], v[24:25], v[20:21]
	v_add_f64 v[79:80], v[156:157], -v[79:80]
	v_add_f64 v[156:157], v[154:155], v[148:149]
	v_fma_f64 v[158:159], v[138:139], s[6:7], v[68:69]
	v_fma_f64 v[88:89], v[84:85], 0.5, v[164:165]
	v_fma_f64 v[68:69], v[138:139], s[4:5], v[68:69]
	v_fma_f64 v[84:85], v[84:85], s[6:7], v[140:141]
	v_add_f64 v[138:139], v[36:37], v[162:163]
	v_add_f64 v[140:141], v[62:63], v[132:133]
	v_add_f64 v[36:37], v[36:37], -v[162:163]
	v_add_f64 v[162:163], v[32:33], v[24:25]
	v_fma_f64 v[32:33], v[146:147], -0.5, v[32:33]
	v_add_f64 v[146:147], v[142:143], -v[144:145]
	v_add_f64 v[172:173], v[86:87], v[90:91]
	v_add_f64 v[132:133], v[62:63], -v[132:133]
	v_fma_f64 v[62:63], v[156:157], -0.5, v[152:153]
	v_add_f64 v[156:157], v[86:87], -v[90:91]
	v_add_f64 v[77:78], v[174:175], v[88:89]
	v_add_f64 v[164:165], v[158:159], v[84:85]
	v_add_f64 v[88:89], v[174:175], -v[88:89]
	v_add_f64 v[84:85], v[158:159], -v[84:85]
	v_add_f64 v[158:159], v[162:163], v[20:21]
	v_add_f64 v[162:163], v[142:143], v[144:145]
	v_fma_f64 v[174:175], v[146:147], s[4:5], v[32:33]
	v_fma_f64 v[172:173], v[172:173], -0.5, v[82:83]
	v_add_f64 v[176:177], v[154:155], -v[148:149]
	v_fma_f64 v[32:33], v[146:147], s[6:7], v[32:33]
	v_fma_f64 v[146:147], v[156:157], s[6:7], v[62:63]
	;; [unrolled: 1-line block ×3, first 2 shown]
	v_add_f64 v[20:21], v[24:25], -v[20:21]
	v_add_f64 v[24:25], v[82:83], v[86:87]
	v_add_f64 v[142:143], v[232:233], v[142:143]
	v_fma_f64 v[156:157], v[162:163], -0.5, v[232:233]
	v_fma_f64 v[81:82], v[176:177], s[4:5], v[172:173]
	v_fma_f64 v[86:87], v[176:177], s[6:7], v[172:173]
	v_mul_f64 v[162:163], v[146:147], s[4:5]
	v_mul_f64 v[172:173], v[62:63], s[4:5]
	v_add_f64 v[152:153], v[152:153], v[154:155]
	v_add_f64 v[24:25], v[24:25], v[90:91]
	;; [unrolled: 1-line block ×4, first 2 shown]
	v_mul_f64 v[144:145], v[146:147], 0.5
	v_mul_f64 v[62:63], v[62:63], -0.5
	v_fma_f64 v[146:147], v[20:21], s[6:7], v[156:157]
	v_fma_f64 v[90:91], v[81:82], 0.5, v[162:163]
	v_fma_f64 v[154:155], v[86:87], -0.5, v[172:173]
	v_add_f64 v[148:149], v[152:153], v[148:149]
	v_fma_f64 v[20:21], v[20:21], s[4:5], v[156:157]
	v_add_f64 v[60:61], v[68:69], -v[60:61]
	v_add_f64 v[68:69], v[158:159], v[24:25]
	v_add_f64 v[156:157], v[26:27], v[22:23]
	v_add_f64 v[24:25], v[158:159], -v[24:25]
	v_add_f64 v[158:159], v[75:76], v[96:97]
	v_fma_f64 v[81:82], v[81:82], s[6:7], v[144:145]
	v_fma_f64 v[62:63], v[86:87], s[6:7], v[62:63]
	v_add_f64 v[86:87], v[174:175], v[90:91]
	v_add_f64 v[144:145], v[32:33], v[154:155]
	v_add_f64 v[152:153], v[142:143], v[148:149]
	v_add_f64 v[90:91], v[174:175], -v[90:91]
	v_add_f64 v[32:33], v[32:33], -v[154:155]
	v_add_f64 v[154:155], v[30:31], v[26:27]
	v_fma_f64 v[30:31], v[156:157], -0.5, v[30:31]
	v_add_f64 v[156:157], v[150:151], -v[54:55]
	v_add_f64 v[174:175], v[8:9], v[4:5]
	v_add_f64 v[142:143], v[142:143], -v[148:149]
	v_fma_f64 v[148:149], v[158:159], -0.5, v[92:93]
	v_add_f64 v[158:159], v[8:9], -v[4:5]
	v_add_f64 v[162:163], v[146:147], v[81:82]
	v_add_f64 v[81:82], v[146:147], -v[81:82]
	v_add_f64 v[146:147], v[154:155], v[22:23]
	v_add_f64 v[154:155], v[150:151], v[54:55]
	v_fma_f64 v[176:177], v[156:157], s[4:5], v[30:31]
	v_fma_f64 v[174:175], v[174:175], -0.5, v[16:17]
	v_add_f64 v[178:179], v[75:76], -v[96:97]
	v_fma_f64 v[30:31], v[156:157], s[6:7], v[30:31]
	v_fma_f64 v[156:157], v[158:159], s[6:7], v[148:149]
	;; [unrolled: 1-line block ×3, first 2 shown]
	v_add_f64 v[8:9], v[16:17], v[8:9]
	v_add_f64 v[150:151], v[234:235], v[150:151]
	v_fma_f64 v[154:155], v[154:155], -0.5, v[234:235]
	v_add_f64 v[22:23], v[26:27], -v[22:23]
	v_fma_f64 v[16:17], v[178:179], s[4:5], v[174:175]
	v_fma_f64 v[26:27], v[178:179], s[6:7], v[174:175]
	v_mul_f64 v[158:159], v[156:157], s[4:5]
	v_mul_f64 v[174:175], v[148:149], s[4:5]
	v_add_f64 v[75:76], v[92:93], v[75:76]
	v_add_f64 v[4:5], v[8:9], v[4:5]
	;; [unrolled: 1-line block ×4, first 2 shown]
	v_mul_f64 v[92:93], v[156:157], 0.5
	v_mul_f64 v[148:149], v[148:149], -0.5
	v_fma_f64 v[150:151], v[22:23], s[6:7], v[154:155]
	v_fma_f64 v[8:9], v[16:17], 0.5, v[158:159]
	v_fma_f64 v[156:157], v[26:27], -0.5, v[174:175]
	v_add_f64 v[75:76], v[75:76], v[96:97]
	v_fma_f64 v[22:23], v[22:23], s[4:5], v[154:155]
	v_add_f64 v[20:21], v[20:21], -v[62:63]
	v_add_f64 v[62:63], v[146:147], v[4:5]
	v_add_f64 v[154:155], v[12:13], v[0:1]
	v_add_f64 v[4:5], v[146:147], -v[4:5]
	v_add_f64 v[146:147], v[64:65], v[6:7]
	v_fma_f64 v[16:17], v[16:17], s[6:7], v[92:93]
	v_fma_f64 v[26:27], v[26:27], s[6:7], v[148:149]
	v_add_f64 v[92:93], v[176:177], v[8:9]
	v_add_f64 v[96:97], v[30:31], v[156:157]
	;; [unrolled: 1-line block ×3, first 2 shown]
	v_add_f64 v[8:9], v[176:177], -v[8:9]
	v_add_f64 v[176:177], v[28:29], v[12:13]
	v_add_f64 v[30:31], v[30:31], -v[156:157]
	v_fma_f64 v[28:29], v[154:155], -0.5, v[28:29]
	v_add_f64 v[154:155], v[160:161], -v[58:59]
	v_add_f64 v[156:157], v[10:11], v[66:67]
	v_add_f64 v[54:55], v[54:55], -v[75:76]
	v_fma_f64 v[75:76], v[146:147], -0.5, v[56:57]
	v_add_f64 v[146:147], v[10:11], -v[66:67]
	v_add_f64 v[178:179], v[34:35], v[160:161]
	v_add_f64 v[160:161], v[160:161], v[58:59]
	v_add_f64 v[182:183], v[64:65], -v[6:7]
	v_fma_f64 v[180:181], v[154:155], s[4:5], v[28:29]
	v_fma_f64 v[156:157], v[156:157], -0.5, v[18:19]
	v_fma_f64 v[28:29], v[154:155], s[6:7], v[28:29]
	v_add_f64 v[176:177], v[176:177], v[0:1]
	v_fma_f64 v[154:155], v[146:147], s[6:7], v[75:76]
	v_fma_f64 v[75:76], v[146:147], s[4:5], v[75:76]
	v_fma_f64 v[34:35], v[160:161], -0.5, v[34:35]
	v_add_f64 v[0:1], v[12:13], -v[0:1]
	v_add_f64 v[10:11], v[18:19], v[10:11]
	v_fma_f64 v[12:13], v[182:183], s[4:5], v[156:157]
	v_fma_f64 v[18:19], v[182:183], s[6:7], v[156:157]
	v_add_f64 v[56:57], v[56:57], v[64:65]
	v_mul_f64 v[146:147], v[154:155], s[4:5]
	v_mul_f64 v[156:157], v[75:76], s[4:5]
	v_mul_f64 v[75:76], v[75:76], -0.5
	v_mul_f64 v[64:65], v[154:155], 0.5
	v_fma_f64 v[154:155], v[0:1], s[6:7], v[34:35]
	v_fma_f64 v[0:1], v[0:1], s[4:5], v[34:35]
	v_add_f64 v[10:11], v[10:11], v[66:67]
	v_add_f64 v[158:159], v[150:151], v[16:17]
	v_fma_f64 v[34:35], v[12:13], 0.5, v[146:147]
	v_fma_f64 v[66:67], v[18:19], -0.5, v[156:157]
	v_fma_f64 v[18:19], v[18:19], s[6:7], v[75:76]
	v_add_f64 v[174:175], v[22:23], v[26:27]
	v_add_f64 v[146:147], v[150:151], -v[16:17]
	v_add_f64 v[22:23], v[22:23], -v[26:27]
	v_add_f64 v[16:17], v[176:177], v[10:11]
	v_add_f64 v[58:59], v[178:179], v[58:59]
	;; [unrolled: 1-line block ×5, first 2 shown]
	v_add_f64 v[18:19], v[0:1], -v[18:19]
	v_mov_b32_e32 v0, 0x10e0
	v_cndmask_b32_e64 v0, 0, v0, s[0:1]
	v_lshlrev_b32_e32 v1, 3, v38
	v_add3_u32 v49, 0, v0, v1
	v_add_u32_e32 v83, 0x800, v49
	v_mul_u32_u24_e32 v0, 0x10e0, v39
	v_lshlrev_b32_sdwa v1, v131, v40 dst_sel:DWORD dst_unused:UNUSED_PAD src0_sel:DWORD src1_sel:BYTE_0
	ds_write2_b64 v83, v[14:15], v[42:43] offset0:104 offset1:194
	v_add3_u32 v14, 0, v0, v1
	v_fma_f64 v[12:13], v[12:13], s[6:7], v[64:65]
	v_add_f64 v[56:57], v[28:29], v[66:67]
	v_add_f64 v[10:11], v[176:177], -v[10:11]
	v_add_f64 v[34:35], v[180:181], -v[34:35]
	;; [unrolled: 1-line block ×3, first 2 shown]
	ds_write2_b64 v49, v[71:72], v[94:95] offset1:90
	v_add_u32_e32 v71, 0x400, v49
	v_add_u32_e32 v15, 0x400, v14
	v_mul_u32_u24_e32 v0, 0x10e0, v41
	v_lshlrev_b32_e32 v1, 3, v44
	ds_write2_b64 v71, v[98:99], v[2:3] offset0:52 offset1:142
	ds_write2_b64 v15, v[138:139], v[79:80] offset0:52 offset1:142
	v_add_u32_e32 v80, 0x800, v14
	v_add3_u32 v98, 0, v0, v1
	ds_write2_b64 v14, v[73:74], v[77:78] offset1:90
	ds_write2_b64 v80, v[88:89], v[36:37] offset0:104 offset1:194
	ds_write2_b64 v98, v[68:69], v[86:87] offset1:90
	v_add_u32_e32 v86, 0x400, v98
	v_mul_u32_u24_e32 v0, 0x10e0, v45
	v_lshlrev_b32_e32 v1, 3, v46
	ds_write2_b64 v86, v[144:145], v[24:25] offset0:52 offset1:142
	v_add3_u32 v25, 0, v0, v1
	v_add_u32_e32 v24, 0x800, v98
	v_add_u32_e32 v87, 0x400, v25
	ds_write2_b64 v24, v[90:91], v[32:33] offset0:104 offset1:194
	ds_write2_b64 v87, v[96:97], v[4:5] offset0:52 offset1:142
	v_add_u32_e32 v96, 0x800, v25
	v_mul_u32_u24_e32 v0, 0x10e0, v47
	v_lshlrev_b32_e32 v1, 3, v48
	ds_write2_b64 v96, v[8:9], v[30:31] offset0:104 offset1:194
	v_add3_u32 v30, 0, v0, v1
	ds_write2_b64 v25, v[62:63], v[92:93] offset1:90
	ds_write2_b64 v30, v[16:17], v[26:27] offset1:90
	v_add_u32_e32 v26, 0x400, v30
	v_add_u32_e32 v27, 0x800, v30
	v_add_f64 v[150:151], v[58:59], v[6:7]
	v_add_f64 v[156:157], v[154:155], v[12:13]
	v_add_f64 v[176:177], v[58:59], -v[6:7]
	v_add_f64 v[154:155], v[154:155], -v[12:13]
	ds_write2_b64 v26, v[56:57], v[10:11] offset0:52 offset1:142
	ds_write2_b64 v27, v[34:35], v[28:29] offset0:104 offset1:194
	s_waitcnt lgkmcnt(0)
	s_barrier
	ds_read2_b64 v[32:35], v105 offset0:56 offset1:164
	ds_read2_b64 v[40:43], v116 offset0:104 offset1:212
	;; [unrolled: 1-line block ×9, first 2 shown]
	ds_read_b64 v[88:89], v103
	ds_read_b64 v[92:93], v106
	;; [unrolled: 1-line block ×4, first 2 shown]
	ds_read2_b64 v[4:7], v50 offset0:96 offset1:204
	ds_read2_b64 v[0:3], v119 offset0:24 offset1:132
	;; [unrolled: 1-line block ×3, first 2 shown]
	ds_read_b64 v[90:91], v130
	ds_read_b64 v[12:13], v129
	s_waitcnt lgkmcnt(0)
	s_barrier
	ds_write2_b64 v49, v[134:135], v[166:167] offset1:90
	ds_write2_b64 v71, v[170:171], v[100:101] offset0:52 offset1:142
	ds_write2_b64 v83, v[51:52], v[136:137] offset0:104 offset1:194
	ds_write2_b64 v14, v[140:141], v[164:165] offset1:90
	ds_write2_b64 v15, v[168:169], v[132:133] offset0:52 offset1:142
	ds_write2_b64 v80, v[84:85], v[60:61] offset0:104 offset1:194
	;; [unrolled: 3-line block ×5, first 2 shown]
	s_waitcnt lgkmcnt(0)
	s_barrier
	s_and_saveexec_b64 s[0:1], vcc
	s_cbranch_execz .LBB0_15
; %bb.14:
	v_mul_i32_i24_e32 v52, 5, v126
	v_lshlrev_b64 v[14:15], 4, v[52:53]
	v_mov_b32_e32 v96, s9
	v_add_co_u32_e32 v51, vcc, s8, v14
	v_addc_co_u32_e32 v54, vcc, v96, v15, vcc
	v_mul_i32_i24_e32 v52, 5, v125
	v_add_co_u32_e32 v14, vcc, 0x2190, v51
	v_lshlrev_b64 v[26:27], 4, v[52:53]
	v_addc_co_u32_e32 v15, vcc, 0, v54, vcc
	v_add_co_u32_e32 v26, vcc, s8, v26
	s_movk_i32 s0, 0x2190
	v_addc_co_u32_e32 v27, vcc, v96, v27, vcc
	v_add_co_u32_e32 v30, vcc, s0, v26
	v_addc_co_u32_e32 v31, vcc, 0, v27, vcc
	v_add_co_u32_e32 v48, vcc, s10, v26
	v_addc_co_u32_e32 v49, vcc, 0, v27, vcc
	global_load_dwordx4 v[18:21], v[14:15], off offset:32
	global_load_dwordx4 v[22:25], v[14:15], off offset:16
	;; [unrolled: 1-line block ×6, first 2 shown]
	v_add_co_u32_e32 v30, vcc, 0x2000, v51
	v_addc_co_u32_e32 v31, vcc, 0, v54, vcc
	global_load_dwordx4 v[136:139], v[48:49], off offset:464
	global_load_dwordx4 v[140:143], v[30:31], off offset:464
	;; [unrolled: 1-line block ×3, first 2 shown]
                                        ; kill: killed $vgpr14 killed $vgpr15
	global_load_dwordx4 v[148:151], v[30:31], off offset:400
	v_mul_i32_i24_e32 v52, 5, v124
	v_lshlrev_b64 v[30:31], 4, v[52:53]
	v_sub_u32_e32 v71, 0, v114
	v_add_co_u32_e32 v52, vcc, s8, v30
	v_addc_co_u32_e32 v55, vcc, v96, v31, vcc
	v_add_co_u32_e32 v30, vcc, s0, v52
	v_addc_co_u32_e32 v31, vcc, 0, v55, vcc
	v_sub_u32_e32 v14, 0, v115
	ds_read2_b64 v[84:87], v116 offset0:104 offset1:212
	ds_read2_b64 v[80:83], v117 offset0:32 offset1:140
	;; [unrolled: 1-line block ×7, first 2 shown]
	v_add_co_u32_e32 v54, vcc, s10, v52
	v_add_u32_e32 v14, v111, v14
	v_addc_co_u32_e32 v55, vcc, 0, v55, vcc
	ds_read_b64 v[14:15], v14
	ds_read_b64 v[176:177], v110
	global_load_dwordx4 v[110:113], v[30:31], off offset:48
	global_load_dwordx4 v[124:127], v[30:31], off offset:32
	;; [unrolled: 1-line block ×5, first 2 shown]
	v_sub_u32_e32 v97, 0, v118
	v_mul_i32_i24_e32 v52, 5, v123
	v_lshlrev_b64 v[52:53], 4, v[52:53]
	s_waitcnt vmcnt(12) lgkmcnt(6)
	v_mul_f64 v[178:179], v[28:29], v[48:49]
	s_waitcnt lgkmcnt(5)
	v_mul_f64 v[54:55], v[20:21], v[116:117]
	v_mul_f64 v[20:21], v[2:3], v[20:21]
	;; [unrolled: 1-line block ×4, first 2 shown]
	s_waitcnt vmcnt(10)
	v_mul_f64 v[180:181], v[130:131], v[114:115]
	s_waitcnt vmcnt(7)
	v_mul_f64 v[184:185], v[10:11], v[142:143]
	s_waitcnt lgkmcnt(4)
	v_mul_f64 v[142:143], v[142:143], v[154:155]
	v_mul_f64 v[130:131], v[0:1], v[130:131]
	s_waitcnt vmcnt(5)
	v_mul_f64 v[188:189], v[150:151], v[50:51]
	v_mul_f64 v[150:151], v[6:7], v[150:151]
	v_fma_f64 v[20:21], v[18:19], v[116:117], -v[20:21]
	v_mul_f64 v[186:187], v[44:45], v[146:147]
	v_mul_f64 v[146:147], v[80:81], v[146:147]
	v_fma_f64 v[116:117], v[140:141], v[154:155], -v[184:185]
	v_fma_f64 v[30:31], v[22:23], v[84:85], -v[30:31]
	v_fma_f64 v[22:23], v[40:41], v[22:23], v[24:25]
	v_fma_f64 v[2:3], v[2:3], v[18:19], v[54:55]
	;; [unrolled: 1-line block ×4, first 2 shown]
	v_fma_f64 v[0:1], v[148:149], v[50:51], -v[150:151]
	v_mul_f64 v[182:183], v[138:139], v[152:153]
	v_add_f64 v[10:11], v[20:21], v[116:117]
	v_mul_f64 v[138:139], v[8:9], v[138:139]
	v_fma_f64 v[40:41], v[128:129], v[114:115], -v[130:131]
	v_fma_f64 v[54:55], v[144:145], v[80:81], -v[186:187]
	v_fma_f64 v[44:45], v[44:45], v[144:145], v[146:147]
	v_fma_f64 v[6:7], v[6:7], v[148:149], v[188:189]
	v_add_f64 v[84:85], v[2:3], v[18:19]
	v_add_f64 v[114:115], v[2:3], -v[18:19]
	v_fma_f64 v[10:11], v[10:11], -0.5, v[0:1]
	v_fma_f64 v[50:51], v[136:137], v[152:153], -v[138:139]
	s_waitcnt lgkmcnt(1)
	v_add_f64 v[80:81], v[14:15], v[30:31]
	v_add_f64 v[128:129], v[12:13], v[22:23]
	v_add_f64 v[130:131], v[30:31], v[54:55]
	v_add_f64 v[138:139], v[22:23], -v[44:45]
	v_add_f64 v[140:141], v[20:21], -v[116:117]
	v_add_f64 v[22:23], v[22:23], v[44:45]
	v_fma_f64 v[84:85], v[84:85], -0.5, v[6:7]
	v_add_f64 v[0:1], v[0:1], v[20:21]
	v_fma_f64 v[20:21], v[114:115], s[4:5], v[10:11]
	v_fma_f64 v[10:11], v[114:115], s[6:7], v[10:11]
	v_mul_f64 v[28:29], v[4:5], v[28:29]
	v_add_f64 v[30:31], v[30:31], -v[54:55]
	v_add_f64 v[54:55], v[80:81], v[54:55]
	v_fma_f64 v[14:15], v[130:131], -0.5, v[14:15]
	v_fma_f64 v[12:13], v[22:23], -0.5, v[12:13]
	v_fma_f64 v[22:23], v[140:141], s[6:7], v[84:85]
	v_fma_f64 v[80:81], v[140:141], s[4:5], v[84:85]
	v_mul_f64 v[84:85], v[20:21], -0.5
	v_mul_f64 v[114:115], v[10:11], 0.5
	v_mul_f64 v[20:21], v[20:21], s[4:5]
	v_mul_f64 v[60:61], v[74:75], v[134:135]
	;; [unrolled: 1-line block ×3, first 2 shown]
	v_fma_f64 v[130:131], v[138:139], s[4:5], v[14:15]
	v_fma_f64 v[138:139], v[138:139], s[6:7], v[14:15]
	v_fma_f64 v[28:29], v[26:27], v[48:49], -v[28:29]
	v_fma_f64 v[14:15], v[22:23], s[6:7], v[84:85]
	v_fma_f64 v[84:85], v[80:81], s[6:7], v[114:115]
	v_fma_f64 v[20:21], v[22:23], -0.5, v[20:21]
	v_add_f64 v[22:23], v[6:7], v[2:3]
	v_fma_f64 v[114:115], v[8:9], v[136:137], v[182:183]
	v_add_f64 v[8:9], v[40:41], v[50:51]
	v_fma_f64 v[140:141], v[30:31], s[6:7], v[12:13]
	v_fma_f64 v[30:31], v[30:31], s[4:5], v[12:13]
	v_mul_f64 v[12:13], v[158:159], v[134:135]
	v_mul_f64 v[100:101], v[162:163], v[100:101]
	v_fma_f64 v[48:49], v[132:133], v[158:159], -v[60:61]
	v_fma_f64 v[60:61], v[98:99], v[162:163], -v[118:119]
	v_fma_f64 v[26:27], v[4:5], v[26:27], v[178:179]
	v_add_f64 v[4:5], v[24:25], v[114:115]
	v_add_f64 v[118:119], v[22:23], v[18:19]
	v_fma_f64 v[18:19], v[8:9], -0.5, v[28:29]
	v_add_f64 v[22:23], v[24:25], -v[114:115]
	v_add_f64 v[116:117], v[0:1], v[116:117]
	v_mul_f64 v[0:1], v[10:11], s[4:5]
	v_fma_f64 v[74:75], v[74:75], v[132:133], v[12:13]
	v_fma_f64 v[78:79], v[78:79], v[98:99], v[100:101]
	v_add_f64 v[44:45], v[128:129], v[44:45]
	v_add_f64 v[128:129], v[48:49], v[60:61]
	v_fma_f64 v[98:99], v[4:5], -0.5, v[26:27]
	v_add_f64 v[100:101], v[40:41], -v[50:51]
	v_fma_f64 v[142:143], v[22:23], s[6:7], v[18:19]
	v_add_u32_e32 v8, v107, v71
	ds_read_b64 v[132:133], v8
	v_fma_f64 v[80:81], v[80:81], 0.5, v[0:1]
	v_add_f64 v[0:1], v[140:141], -v[20:21]
	v_add_f64 v[12:13], v[140:141], v[20:21]
	v_add_f64 v[20:21], v[74:75], v[78:79]
	v_add_f64 v[2:3], v[130:131], -v[14:15]
	v_add_f64 v[6:7], v[138:139], -v[84:85]
	v_fma_f64 v[134:135], v[22:23], s[4:5], v[18:19]
	v_add_f64 v[14:15], v[130:131], v[14:15]
	s_waitcnt lgkmcnt(0)
	v_fma_f64 v[128:129], v[128:129], -0.5, v[132:133]
	v_add_f64 v[130:131], v[74:75], -v[78:79]
	v_fma_f64 v[136:137], v[100:101], s[6:7], v[98:99]
	v_add_f64 v[18:19], v[138:139], v[84:85]
	v_fma_f64 v[84:85], v[100:101], s[4:5], v[98:99]
	v_mul_f64 v[98:99], v[142:143], 0.5
	v_add_f64 v[28:29], v[28:29], v[40:41]
	v_fma_f64 v[20:21], v[20:21], -0.5, v[16:17]
	v_add_f64 v[40:41], v[48:49], -v[60:61]
	v_add_f64 v[16:17], v[16:17], v[74:75]
	v_add_f64 v[10:11], v[54:55], -v[116:117]
	v_add_f64 v[22:23], v[54:55], v[116:117]
	v_fma_f64 v[54:55], v[130:131], s[4:5], v[128:129]
	v_fma_f64 v[128:129], v[130:131], s[6:7], v[128:129]
	v_add_f64 v[100:101], v[132:133], v[48:49]
	v_fma_f64 v[130:131], v[84:85], s[6:7], v[98:99]
	v_mul_f64 v[98:99], v[142:143], s[4:5]
	v_add_f64 v[24:25], v[26:27], v[24:25]
	v_add_f64 v[4:5], v[30:31], -v[80:81]
	v_add_f64 v[8:9], v[44:45], -v[118:119]
	v_fma_f64 v[146:147], v[40:41], s[6:7], v[20:21]
	v_fma_f64 v[40:41], v[40:41], s[4:5], v[20:21]
	v_add_f64 v[78:79], v[16:17], v[78:79]
	v_add_f64 v[16:17], v[30:31], v[80:81]
	;; [unrolled: 1-line block ×3, first 2 shown]
	s_waitcnt vmcnt(3)
	v_mul_f64 v[44:45], v[64:65], v[126:127]
	s_waitcnt vmcnt(0)
	v_mul_f64 v[80:81], v[68:69], v[174:175]
	v_mul_f64 v[144:145], v[134:135], -0.5
	v_add_f64 v[74:75], v[100:101], v[60:61]
	v_fma_f64 v[84:85], v[84:85], 0.5, v[98:99]
	ds_read2_b64 v[98:101], v109 offset0:64 offset1:172
	v_add_co_u32_e32 v109, vcc, s8, v52
	v_add_f64 v[152:153], v[24:25], v[114:115]
	ds_read2_b64 v[114:117], v108 offset0:120 offset1:228
	v_addc_co_u32_e32 v123, vcc, v96, v53, vcc
	v_add_co_u32_e32 v52, vcc, s0, v109
	v_addc_co_u32_e32 v53, vcc, 0, v123, vcc
	v_add_f64 v[30:31], v[128:129], -v[130:131]
	v_add_f64 v[60:61], v[128:129], v[130:131]
	ds_read2_b64 v[128:131], v70 offset0:136 offset1:244
	s_waitcnt lgkmcnt(2)
	v_mul_f64 v[70:71], v[126:127], v[100:101]
	v_add_co_u32_e32 v126, vcc, s10, v109
	v_addc_co_u32_e32 v127, vcc, 0, v123, vcc
	v_mul_f64 v[48:49], v[134:135], s[4:5]
	s_waitcnt lgkmcnt(1)
	v_mul_f64 v[107:108], v[174:175], v[116:117]
	v_fma_f64 v[44:45], v[124:125], v[100:101], -v[44:45]
	v_fma_f64 v[80:81], v[172:173], v[116:117], -v[80:81]
	v_mul_f64 v[100:101], v[58:59], v[170:171]
	global_load_dwordx4 v[116:119], v[52:53], off offset:32
	global_load_dwordx4 v[132:135], v[126:127], off offset:464
	v_mul_f64 v[140:141], v[72:73], v[166:167]
	v_fma_f64 v[138:139], v[136:137], s[6:7], v[144:145]
	v_mul_f64 v[150:151], v[76:77], v[112:113]
	v_fma_f64 v[158:159], v[64:65], v[124:125], v[70:71]
	global_load_dwordx4 v[123:126], v[126:127], off offset:400
	s_waitcnt lgkmcnt(0)
	v_fma_f64 v[64:65], v[168:169], v[130:131], -v[100:101]
	v_fma_f64 v[148:149], v[136:137], -0.5, v[48:49]
	v_add_f64 v[144:145], v[28:29], v[50:51]
	v_fma_f64 v[100:101], v[164:165], v[156:157], -v[140:141]
	global_load_dwordx4 v[140:143], v[52:53], off offset:48
	v_add_f64 v[26:27], v[54:55], -v[138:139]
	v_add_f64 v[54:55], v[54:55], v[138:139]
	global_load_dwordx4 v[136:139], v[52:53], off offset:16
	v_mul_f64 v[154:155], v[170:171], v[130:131]
	v_fma_f64 v[162:163], v[68:69], v[172:173], v[107:108]
	v_add_f64 v[68:69], v[44:45], v[80:81]
	v_fma_f64 v[107:108], v[110:111], v[160:161], -v[150:151]
	v_mul_f64 v[130:131], v[156:157], v[166:167]
	v_mul_f64 v[112:113], v[160:161], v[112:113]
	v_add_f64 v[50:51], v[74:75], -v[144:145]
	v_add_f64 v[70:71], v[74:75], v[144:145]
	v_fma_f64 v[156:157], v[58:59], v[168:169], v[154:155]
	v_add_f64 v[58:59], v[158:159], v[162:163]
	v_fma_f64 v[68:69], v[68:69], -0.5, v[64:65]
	v_add_f64 v[150:151], v[158:159], -v[162:163]
	v_add_f64 v[74:75], v[100:101], v[107:108]
	v_fma_f64 v[72:73], v[72:73], v[164:165], v[130:131]
	v_fma_f64 v[130:131], v[76:77], v[110:111], v[112:113]
	v_add_f64 v[28:29], v[40:41], -v[84:85]
	v_add_f64 v[109:110], v[44:45], -v[80:81]
	v_fma_f64 v[76:77], v[58:59], -0.5, v[156:157]
	v_add_f64 v[58:59], v[40:41], v[84:85]
	v_fma_f64 v[111:112], v[150:151], s[4:5], v[68:69]
	v_fma_f64 v[40:41], v[150:151], s[6:7], v[68:69]
	v_fma_f64 v[68:69], v[74:75], -0.5, v[176:177]
	v_add_f64 v[74:75], v[72:73], v[130:131]
	v_add_f64 v[144:145], v[72:73], -v[130:131]
	v_add_f64 v[24:25], v[146:147], -v[148:149]
	v_add_f64 v[52:53], v[146:147], v[148:149]
	v_fma_f64 v[146:147], v[109:110], s[6:7], v[76:77]
	v_add_f64 v[150:151], v[176:177], v[100:101]
	v_add_f64 v[44:45], v[64:65], v[44:45]
	v_mul_f64 v[148:149], v[111:112], -0.5
	v_fma_f64 v[64:65], v[74:75], -0.5, v[94:95]
	v_add_f64 v[74:75], v[100:101], -v[107:108]
	v_mul_f64 v[100:101], v[111:112], s[4:5]
	v_fma_f64 v[76:77], v[109:110], s[4:5], v[76:77]
	v_mul_f64 v[109:110], v[40:41], 0.5
	v_fma_f64 v[160:161], v[144:145], s[4:5], v[68:69]
	v_fma_f64 v[166:167], v[144:145], s[6:7], v[68:69]
	v_mul_u32_u24_e32 v68, 5, v122
	v_lshlrev_b32_e32 v68, 4, v68
	v_add_co_u32_e32 v68, vcc, s8, v68
	v_addc_co_u32_e32 v69, vcc, 0, v96, vcc
	v_fma_f64 v[172:173], v[146:147], -0.5, v[100:101]
	v_add_co_u32_e32 v100, vcc, s0, v68
	v_addc_co_u32_e32 v101, vcc, 0, v69, vcc
	v_add_co_u32_e32 v68, vcc, s10, v68
	ds_read_b64 v[84:85], v106
	v_fma_f64 v[164:165], v[146:147], s[6:7], v[148:149]
	v_fma_f64 v[168:169], v[76:77], s[6:7], v[109:110]
	v_add_f64 v[170:171], v[150:151], v[107:108]
	v_addc_co_u32_e32 v69, vcc, 0, v69, vcc
	global_load_dwordx4 v[106:109], v[100:101], off offset:48
	global_load_dwordx4 v[110:113], v[100:101], off offset:32
	;; [unrolled: 1-line block ×4, first 2 shown]
	v_add_f64 v[48:49], v[78:79], -v[152:153]
	v_add_f64 v[68:69], v[78:79], v[152:153]
	global_load_dwordx4 v[152:155], v[100:101], off offset:16
	v_mul_f64 v[40:41], v[40:41], s[4:5]
	v_add_f64 v[44:45], v[44:45], v[80:81]
	v_fma_f64 v[80:81], v[74:75], s[6:7], v[64:65]
	v_fma_f64 v[174:175], v[74:75], s[4:5], v[64:65]
	v_add_f64 v[78:79], v[166:167], -v[168:169]
	v_add_f64 v[74:75], v[160:161], -v[164:165]
	s_waitcnt vmcnt(8)
	v_mul_f64 v[100:101], v[66:67], v[134:135]
	v_mul_f64 v[134:135], v[134:135], v[114:115]
	v_fma_f64 v[176:177], v[76:77], 0.5, v[40:41]
	v_add_f64 v[40:41], v[94:95], v[72:73]
	v_mul_f64 v[94:95], v[62:63], v[118:119]
	v_mul_f64 v[118:119], v[118:119], v[98:99]
	s_waitcnt vmcnt(7)
	v_mul_f64 v[178:179], v[56:57], v[125:126]
	v_mul_f64 v[125:126], v[125:126], v[128:129]
	v_fma_f64 v[114:115], v[132:133], v[114:115], -v[100:101]
	v_fma_f64 v[66:67], v[66:67], v[132:133], v[134:135]
	v_add_f64 v[64:65], v[170:171], -v[44:45]
	v_add_f64 v[130:131], v[40:41], v[130:131]
	v_add_f64 v[40:41], v[156:157], v[158:159]
	ds_read2_b64 v[156:159], v105 offset0:56 offset1:164
	v_fma_f64 v[94:95], v[116:117], v[98:99], -v[94:95]
	ds_read2_b64 v[98:101], v104 offset0:112 offset1:220
	s_waitcnt vmcnt(6)
	v_mul_f64 v[104:105], v[38:39], v[142:143]
	s_waitcnt vmcnt(5)
	v_mul_f64 v[180:181], v[34:35], v[138:139]
	v_fma_f64 v[118:119], v[62:63], v[116:117], v[118:119]
	s_waitcnt lgkmcnt(1)
	v_mul_f64 v[116:117], v[158:159], v[138:139]
	v_fma_f64 v[127:128], v[123:124], v[128:129], -v[178:179]
	v_fma_f64 v[56:57], v[56:57], v[123:124], v[125:126]
	v_add_f64 v[62:63], v[94:95], v[114:115]
	v_add_f64 v[132:133], v[40:41], v[162:163]
	s_waitcnt lgkmcnt(0)
	v_fma_f64 v[104:105], v[140:141], v[100:101], -v[104:105]
	v_mul_f64 v[100:101], v[100:101], v[142:143]
	v_fma_f64 v[134:135], v[136:137], v[158:159], -v[180:181]
	v_add_f64 v[123:124], v[118:119], v[66:67]
	v_fma_f64 v[34:35], v[34:35], v[136:137], v[116:117]
	v_add_f64 v[138:139], v[118:119], -v[66:67]
	v_fma_f64 v[125:126], v[62:63], -0.5, v[127:128]
	v_add_f64 v[116:117], v[166:167], v[168:169]
	v_add_f64 v[62:63], v[130:131], -v[132:133]
	v_fma_f64 v[100:101], v[38:39], v[140:141], v[100:101]
	v_add_f64 v[142:143], v[134:135], v[104:105]
	v_fma_f64 v[38:39], v[123:124], -0.5, v[56:57]
	v_add_f64 v[123:124], v[94:95], -v[114:115]
	v_add_f64 v[94:95], v[127:128], v[94:95]
	v_fma_f64 v[136:137], v[138:139], s[4:5], v[125:126]
	v_fma_f64 v[138:139], v[138:139], s[6:7], v[125:126]
	v_add_f64 v[125:126], v[170:171], v[44:45]
	v_add_f64 v[127:128], v[34:35], v[100:101]
	v_fma_f64 v[44:45], v[142:143], -0.5, v[84:85]
	v_add_f64 v[84:85], v[84:85], v[134:135]
	v_add_f64 v[142:143], v[34:35], -v[100:101]
	v_add_f64 v[34:35], v[92:93], v[34:35]
	ds_read_b64 v[140:141], v103
	v_fma_f64 v[158:159], v[123:124], s[6:7], v[38:39]
	v_fma_f64 v[162:163], v[123:124], s[4:5], v[38:39]
	v_fma_f64 v[127:128], v[127:128], -0.5, v[92:93]
	v_add_u32_e32 v92, v102, v97
	ds_read_b64 v[92:93], v92
	v_mul_f64 v[123:124], v[138:139], 0.5
	v_add_f64 v[166:167], v[84:85], v[104:105]
	v_add_f64 v[103:104], v[134:135], -v[104:105]
	v_mul_f64 v[134:135], v[136:137], s[4:5]
	v_add_f64 v[40:41], v[160:161], v[164:165]
	v_mul_f64 v[160:161], v[136:137], -0.5
	v_add_f64 v[56:57], v[56:57], v[118:119]
	v_add_f64 v[100:101], v[34:35], v[100:101]
	v_fma_f64 v[164:165], v[162:163], s[6:7], v[123:124]
	v_add_f64 v[123:124], v[130:131], v[132:133]
	v_fma_f64 v[131:132], v[103:104], s[6:7], v[127:128]
	v_fma_f64 v[133:134], v[158:159], -0.5, v[134:135]
	v_fma_f64 v[103:104], v[103:104], s[4:5], v[127:128]
	v_mul_f64 v[129:130], v[138:139], s[4:5]
	v_add_f64 v[72:73], v[80:81], -v[172:173]
	s_waitcnt vmcnt(4)
	v_mul_f64 v[137:138], v[36:37], v[108:109]
	s_waitcnt vmcnt(3)
	v_mul_f64 v[127:128], v[42:43], v[112:113]
	v_mul_f64 v[96:97], v[112:113], v[86:87]
	s_waitcnt vmcnt(1)
	v_mul_f64 v[135:136], v[46:47], v[150:151]
	v_mul_f64 v[112:113], v[150:151], v[82:83]
	s_waitcnt lgkmcnt(0)
	v_mul_f64 v[118:119], v[146:147], v[92:93]
	v_add_f64 v[38:39], v[80:81], v[172:173]
	v_fma_f64 v[80:81], v[142:143], s[4:5], v[44:45]
	v_fma_f64 v[160:161], v[158:159], s[6:7], v[160:161]
	v_fma_f64 v[86:87], v[110:111], v[86:87], -v[127:128]
	v_mul_f64 v[127:128], v[90:91], v[146:147]
	v_fma_f64 v[135:136], v[148:149], v[82:83], -v[135:136]
	s_waitcnt vmcnt(0)
	v_mul_f64 v[82:83], v[32:33], v[154:155]
	v_fma_f64 v[96:97], v[42:43], v[110:111], v[96:97]
	v_fma_f64 v[46:47], v[46:47], v[148:149], v[112:113]
	v_add_f64 v[56:57], v[56:57], v[66:67]
	v_fma_f64 v[142:143], v[142:143], s[6:7], v[44:45]
	v_add_f64 v[44:45], v[80:81], -v[160:161]
	v_fma_f64 v[110:111], v[144:145], v[92:93], -v[127:128]
	v_add_f64 v[42:43], v[86:87], v[135:136]
	v_fma_f64 v[112:113], v[152:153], v[156:157], -v[82:83]
	v_mul_f64 v[82:83], v[156:157], v[154:155]
	v_mul_f64 v[92:93], v[98:99], v[108:109]
	v_fma_f64 v[127:128], v[106:107], v[98:99], -v[137:138]
	v_fma_f64 v[108:109], v[90:91], v[144:145], v[118:119]
	v_add_f64 v[90:91], v[96:97], v[46:47]
	v_add_f64 v[98:99], v[96:97], -v[46:47]
	v_fma_f64 v[34:35], v[42:43], -0.5, v[110:111]
	v_add_f64 v[137:138], v[86:87], -v[135:136]
	v_fma_f64 v[32:33], v[32:33], v[152:153], v[82:83]
	v_fma_f64 v[105:106], v[36:37], v[106:107], v[92:93]
	v_add_f64 v[66:67], v[112:113], v[127:128]
	v_add_f64 v[42:43], v[131:132], -v[133:134]
	v_fma_f64 v[118:119], v[90:91], -0.5, v[108:109]
	v_add_f64 v[36:37], v[80:81], v[160:161]
	v_fma_f64 v[144:145], v[98:99], s[4:5], v[34:35]
	v_fma_f64 v[148:149], v[98:99], s[6:7], v[34:35]
	v_add_f64 v[34:35], v[131:132], v[133:134]
	v_add_f64 v[131:132], v[32:33], v[105:106]
	v_fma_f64 v[66:67], v[66:67], -0.5, v[140:141]
	v_add_f64 v[80:81], v[32:33], -v[105:106]
	v_fma_f64 v[146:147], v[137:138], s[6:7], v[118:119]
	v_fma_f64 v[118:119], v[137:138], s[4:5], v[118:119]
	v_mul_f64 v[150:151], v[144:145], -0.5
	v_mul_f64 v[137:138], v[148:149], 0.5
	v_add_f64 v[86:87], v[110:111], v[86:87]
	v_fma_f64 v[110:111], v[131:132], -0.5, v[88:89]
	v_add_f64 v[32:33], v[88:89], v[32:33]
	v_add_f64 v[88:89], v[108:109], v[96:97]
	v_fma_f64 v[133:134], v[80:81], s[4:5], v[66:67]
	v_fma_f64 v[66:67], v[80:81], s[6:7], v[66:67]
	v_add_f64 v[80:81], v[140:141], v[112:113]
	v_add_f64 v[84:85], v[142:143], -v[164:165]
	v_fma_f64 v[129:130], v[162:163], 0.5, v[129:130]
	v_add_f64 v[90:91], v[142:143], v[164:165]
	v_fma_f64 v[142:143], v[146:147], s[6:7], v[150:151]
	v_fma_f64 v[137:138], v[118:119], s[6:7], v[137:138]
	v_add_f64 v[92:93], v[100:101], -v[56:57]
	v_add_f64 v[96:97], v[100:101], v[56:57]
	v_mad_u64_u32 v[56:57], s[0:1], s2, v122, 0
	v_add_f64 v[32:33], v[32:33], v[105:106]
	v_add_f64 v[46:47], v[88:89], v[46:47]
	;; [unrolled: 1-line block ×4, first 2 shown]
	v_add_f64 v[82:83], v[103:104], -v[129:130]
	v_add_f64 v[88:89], v[103:104], v[129:130]
	v_add_f64 v[102:103], v[133:134], -v[142:143]
	v_add_f64 v[106:107], v[66:67], -v[137:138]
	v_add_f64 v[129:130], v[133:134], v[142:143]
	v_add_f64 v[133:134], v[66:67], v[137:138]
	v_mad_u64_u32 v[66:67], s[0:1], s3, v122, v[57:58]
	v_add_f64 v[112:113], v[112:113], -v[127:128]
	v_mul_f64 v[131:132], v[144:145], s[4:5]
	v_mul_f64 v[139:140], v[148:149], s[4:5]
	v_mov_b32_e32 v57, v66
	v_add_u32_e32 v66, 0x21c, v122
	v_add_f64 v[108:109], v[32:33], -v[46:47]
	v_add_f64 v[135:136], v[32:33], v[46:47]
	v_lshlrev_b64 v[46:47], 4, v[56:57]
	v_mad_u64_u32 v[56:57], s[0:1], s2, v66, 0
	v_add_f64 v[137:138], v[80:81], v[86:87]
	v_fma_f64 v[127:128], v[112:113], s[6:7], v[110:111]
	v_mad_u64_u32 v[66:67], s[0:1], s3, v66, v[57:58]
	v_fma_f64 v[131:132], v[146:147], -0.5, v[131:132]
	v_fma_f64 v[112:113], v[112:113], s[4:5], v[110:111]
	v_fma_f64 v[118:119], v[118:119], 0.5, v[139:140]
	v_add_u32_e32 v67, 0x438, v122
	v_add_f64 v[110:111], v[80:81], -v[86:87]
	v_mov_b32_e32 v33, s13
	v_add_co_u32_e32 v32, vcc, s12, v120
	v_mad_u64_u32 v[80:81], s[0:1], s2, v67, 0
	v_addc_co_u32_e32 v33, vcc, v33, v121, vcc
	v_add_co_u32_e32 v46, vcc, v32, v46
	v_addc_co_u32_e32 v47, vcc, v33, v47, vcc
	v_mov_b32_e32 v57, v66
	global_store_dwordx4 v[46:47], v[135:138], off
	v_lshlrev_b64 v[46:47], 4, v[56:57]
	v_mov_b32_e32 v56, v81
	v_mad_u64_u32 v[56:57], s[0:1], s3, v67, v[56:57]
	v_add_f64 v[100:101], v[127:128], -v[131:132]
	v_add_f64 v[127:128], v[127:128], v[131:132]
	v_add_f64 v[131:132], v[112:113], v[118:119]
	v_add_u32_e32 v66, 0x654, v122
	v_mov_b32_e32 v81, v56
	v_mad_u64_u32 v[56:57], s[0:1], s2, v66, 0
	v_add_co_u32_e32 v46, vcc, v32, v46
	v_mad_u64_u32 v[66:67], s[0:1], s3, v66, v[57:58]
	v_addc_co_u32_e32 v47, vcc, v33, v47, vcc
	v_add_u32_e32 v67, 0x870, v122
	global_store_dwordx4 v[46:47], v[131:134], off
	v_lshlrev_b64 v[46:47], 4, v[80:81]
	v_mad_u64_u32 v[80:81], s[0:1], s2, v67, 0
	v_add_co_u32_e32 v46, vcc, v32, v46
	v_addc_co_u32_e32 v47, vcc, v33, v47, vcc
	v_mov_b32_e32 v57, v66
	global_store_dwordx4 v[46:47], v[127:130], off
	v_lshlrev_b64 v[46:47], 4, v[56:57]
	v_mov_b32_e32 v56, v81
	v_mad_u64_u32 v[56:57], s[0:1], s3, v67, v[56:57]
	v_add_f64 v[104:105], v[112:113], -v[118:119]
	v_add_co_u32_e32 v46, vcc, v32, v46
	v_addc_co_u32_e32 v47, vcc, v33, v47, vcc
	v_mov_b32_e32 v81, v56
	v_add_u32_e32 v66, 0xa8c, v122
	global_store_dwordx4 v[46:47], v[108:111], off
	v_lshlrev_b64 v[46:47], 4, v[80:81]
	v_mad_u64_u32 v[56:57], s[0:1], s2, v66, 0
	v_add_co_u32_e32 v46, vcc, v32, v46
	v_addc_co_u32_e32 v47, vcc, v33, v47, vcc
	global_store_dwordx4 v[46:47], v[104:107], off
	v_mov_b32_e32 v46, v57
	v_mad_u64_u32 v[46:47], s[0:1], s3, v66, v[46:47]
	v_add_u32_e32 v80, 0x6c, v122
	v_mad_u64_u32 v[66:67], s[0:1], s2, v80, 0
	v_mov_b32_e32 v57, v46
	v_lshlrev_b64 v[46:47], 4, v[56:57]
	v_mov_b32_e32 v56, v67
	v_add_f64 v[168:169], v[94:95], v[114:115]
	v_mad_u64_u32 v[56:57], s[4:5], s3, v80, v[56:57]
	v_add_co_u32_e32 v46, vcc, v32, v46
	v_addc_co_u32_e32 v47, vcc, v33, v47, vcc
	v_mov_b32_e32 v67, v56
	global_store_dwordx4 v[46:47], v[100:103], off
	v_lshlrev_b64 v[46:47], 4, v[66:67]
	v_add_u32_e32 v66, 0x288, v122
	v_mad_u64_u32 v[56:57], s[4:5], s2, v66, 0
	v_add_f64 v[98:99], v[166:167], v[168:169]
	v_add_co_u32_e32 v46, vcc, v32, v46
	v_mad_u64_u32 v[66:67], s[4:5], s3, v66, v[57:58]
	v_add_u32_e32 v67, 0x4a4, v122
	v_mad_u64_u32 v[80:81], s[4:5], s2, v67, 0
	v_addc_co_u32_e32 v47, vcc, v33, v47, vcc
	v_mov_b32_e32 v57, v66
	global_store_dwordx4 v[46:47], v[96:99], off
	v_lshlrev_b64 v[46:47], 4, v[56:57]
	v_mov_b32_e32 v56, v81
	v_mad_u64_u32 v[56:57], s[4:5], s3, v67, v[56:57]
	v_add_u32_e32 v66, 0x6c0, v122
	v_add_co_u32_e32 v46, vcc, v32, v46
	v_mov_b32_e32 v81, v56
	v_mad_u64_u32 v[56:57], s[4:5], s2, v66, 0
	v_addc_co_u32_e32 v47, vcc, v33, v47, vcc
	v_mad_u64_u32 v[66:67], s[4:5], s3, v66, v[57:58]
	v_add_u32_e32 v67, 0x8dc, v122
	global_store_dwordx4 v[46:47], v[88:91], off
	v_lshlrev_b64 v[46:47], 4, v[80:81]
	v_mad_u64_u32 v[80:81], s[4:5], s2, v67, 0
	v_add_co_u32_e32 v46, vcc, v32, v46
	v_addc_co_u32_e32 v47, vcc, v33, v47, vcc
	global_store_dwordx4 v[46:47], v[34:37], off
	v_add_f64 v[94:95], v[166:167], -v[168:169]
	v_mov_b32_e32 v36, v81
	v_mad_u64_u32 v[36:37], s[4:5], s3, v67, v[36:37]
	v_add_u32_e32 v46, 0xaf8, v122
	v_mov_b32_e32 v57, v66
	v_mov_b32_e32 v81, v36
	v_mad_u64_u32 v[36:37], s[4:5], s2, v46, 0
	v_lshlrev_b64 v[34:35], 4, v[56:57]
	v_add_f64 v[114:115], v[174:175], v[176:177]
	v_add_co_u32_e32 v34, vcc, v32, v34
	v_mad_u64_u32 v[46:47], s[4:5], s3, v46, v[37:38]
	v_addc_co_u32_e32 v35, vcc, v33, v35, vcc
	v_add_u32_e32 v47, 0xd8, v122
	global_store_dwordx4 v[34:35], v[92:95], off
	v_lshlrev_b64 v[34:35], 4, v[80:81]
	v_mad_u64_u32 v[56:57], s[4:5], s2, v47, 0
	v_add_co_u32_e32 v34, vcc, v32, v34
	v_addc_co_u32_e32 v35, vcc, v33, v35, vcc
	v_mov_b32_e32 v37, v46
	global_store_dwordx4 v[34:35], v[82:85], off
	v_lshlrev_b64 v[34:35], 4, v[36:37]
	v_mov_b32_e32 v36, v57
	v_mad_u64_u32 v[36:37], s[4:5], s3, v47, v[36:37]
	v_add_co_u32_e32 v34, vcc, v32, v34
	v_addc_co_u32_e32 v35, vcc, v33, v35, vcc
	global_store_dwordx4 v[34:35], v[42:45], off
	v_mov_b32_e32 v57, v36
	v_add_u32_e32 v42, 0x2f4, v122
	v_mad_u64_u32 v[36:37], s[4:5], s2, v42, 0
	v_add_u32_e32 v45, 0x510, v122
	v_lshlrev_b64 v[34:35], 4, v[56:57]
	v_mad_u64_u32 v[42:43], s[4:5], s3, v42, v[37:38]
	v_mad_u64_u32 v[43:44], s[4:5], s2, v45, 0
	v_add_co_u32_e32 v34, vcc, v32, v34
	v_addc_co_u32_e32 v35, vcc, v33, v35, vcc
	v_mov_b32_e32 v37, v42
	global_store_dwordx4 v[34:35], v[123:126], off
	v_lshlrev_b64 v[34:35], 4, v[36:37]
	v_mov_b32_e32 v36, v44
	v_mad_u64_u32 v[36:37], s[4:5], s3, v45, v[36:37]
	v_add_u32_e32 v42, 0x72c, v122
	v_add_co_u32_e32 v34, vcc, v32, v34
	v_mov_b32_e32 v44, v36
	v_mad_u64_u32 v[36:37], s[4:5], s2, v42, 0
	v_addc_co_u32_e32 v35, vcc, v33, v35, vcc
	global_store_dwordx4 v[34:35], v[114:117], off
	v_lshlrev_b64 v[34:35], 4, v[43:44]
	v_mad_u64_u32 v[42:43], s[4:5], s3, v42, v[37:38]
	v_add_u32_e32 v45, 0x948, v122
	v_mad_u64_u32 v[43:44], s[4:5], s2, v45, 0
	v_add_co_u32_e32 v34, vcc, v32, v34
	v_addc_co_u32_e32 v35, vcc, v33, v35, vcc
	v_mov_b32_e32 v37, v42
	global_store_dwordx4 v[34:35], v[38:41], off
	v_lshlrev_b64 v[34:35], 4, v[36:37]
	v_mov_b32_e32 v36, v44
	v_mad_u64_u32 v[36:37], s[4:5], s3, v45, v[36:37]
	v_add_u32_e32 v38, 0xb64, v122
	v_add_f64 v[76:77], v[174:175], -v[176:177]
	v_mov_b32_e32 v44, v36
	v_mad_u64_u32 v[36:37], s[4:5], s2, v38, 0
	v_add_co_u32_e32 v34, vcc, v32, v34
	v_addc_co_u32_e32 v35, vcc, v33, v35, vcc
	v_mad_u64_u32 v[37:38], s[4:5], s3, v38, v[37:38]
	v_add_u32_e32 v40, 0x144, v122
	global_store_dwordx4 v[34:35], v[62:65], off
	v_lshlrev_b64 v[34:35], 4, v[43:44]
	v_mad_u64_u32 v[38:39], s[4:5], s2, v40, 0
	v_add_co_u32_e32 v34, vcc, v32, v34
	v_addc_co_u32_e32 v35, vcc, v33, v35, vcc
	global_store_dwordx4 v[34:35], v[76:79], off
	v_lshlrev_b64 v[34:35], 4, v[36:37]
	v_mov_b32_e32 v36, v39
	v_mad_u64_u32 v[36:37], s[4:5], s3, v40, v[36:37]
	v_add_co_u32_e32 v34, vcc, v32, v34
	v_addc_co_u32_e32 v35, vcc, v33, v35, vcc
	v_mov_b32_e32 v39, v36
	global_store_dwordx4 v[34:35], v[72:75], off
	v_lshlrev_b64 v[34:35], 4, v[38:39]
	v_add_u32_e32 v38, 0x360, v122
	v_mad_u64_u32 v[36:37], s[4:5], s2, v38, 0
	v_add_u32_e32 v40, 0x57c, v122
	v_add_co_u32_e32 v34, vcc, v32, v34
	v_mad_u64_u32 v[37:38], s[4:5], s3, v38, v[37:38]
	v_mad_u64_u32 v[38:39], s[4:5], s2, v40, 0
	v_addc_co_u32_e32 v35, vcc, v33, v35, vcc
	global_store_dwordx4 v[34:35], v[68:71], off
	v_lshlrev_b64 v[34:35], 4, v[36:37]
	v_mov_b32_e32 v36, v39
	v_mad_u64_u32 v[36:37], s[4:5], s3, v40, v[36:37]
	v_add_co_u32_e32 v34, vcc, v32, v34
	v_addc_co_u32_e32 v35, vcc, v33, v35, vcc
	v_mov_b32_e32 v39, v36
	global_store_dwordx4 v[34:35], v[58:61], off
	v_lshlrev_b64 v[34:35], 4, v[38:39]
	v_add_u32_e32 v38, 0x798, v122
	v_mad_u64_u32 v[36:37], s[4:5], s2, v38, 0
	v_add_u32_e32 v40, 0x9b4, v122
	v_add_co_u32_e32 v34, vcc, v32, v34
	v_mad_u64_u32 v[37:38], s[4:5], s3, v38, v[37:38]
	v_mad_u64_u32 v[38:39], s[4:5], s2, v40, 0
	v_addc_co_u32_e32 v35, vcc, v33, v35, vcc
	global_store_dwordx4 v[34:35], v[52:55], off
	v_lshlrev_b64 v[34:35], 4, v[36:37]
	v_mov_b32_e32 v36, v39
	v_mad_u64_u32 v[36:37], s[4:5], s3, v40, v[36:37]
	v_add_co_u32_e32 v34, vcc, v32, v34
	v_addc_co_u32_e32 v35, vcc, v33, v35, vcc
	v_mov_b32_e32 v39, v36
	global_store_dwordx4 v[34:35], v[48:51], off
	v_lshlrev_b64 v[34:35], 4, v[38:39]
	v_add_u32_e32 v38, 0xbd0, v122
	v_mad_u64_u32 v[36:37], s[4:5], s2, v38, 0
	s_mov_b32 s1, 0xf2b9d649
	v_add_co_u32_e32 v34, vcc, v32, v34
	v_mad_u64_u32 v[37:38], s[4:5], s3, v38, v[37:38]
	v_add_u32_e32 v38, 0x1b0, v122
	v_mul_hi_u32 v39, v38, s1
	v_addc_co_u32_e32 v35, vcc, v33, v35, vcc
	s_movk_i32 s0, 0xa8c
	global_store_dwordx4 v[34:35], v[28:31], off
	s_nop 0
	v_lshrrev_b32_e32 v30, 9, v39
	v_lshlrev_b64 v[28:29], 4, v[36:37]
	v_mad_u32_u24 v37, v30, s0, v38
	v_mad_u64_u32 v[30:31], s[0:1], s2, v37, 0
	v_add_co_u32_e32 v28, vcc, v32, v28
	v_mad_u64_u32 v[34:35], s[0:1], s3, v37, v[31:32]
	v_add_u32_e32 v38, 0x21c, v37
	v_addc_co_u32_e32 v29, vcc, v33, v29, vcc
	v_mad_u64_u32 v[35:36], s[0:1], s2, v38, 0
	v_mov_b32_e32 v31, v34
	global_store_dwordx4 v[28:29], v[24:27], off
	s_nop 0
	v_lshlrev_b64 v[24:25], 4, v[30:31]
	v_mov_b32_e32 v26, v36
	v_add_co_u32_e32 v24, vcc, v32, v24
	v_addc_co_u32_e32 v25, vcc, v33, v25, vcc
	v_mad_u64_u32 v[26:27], s[0:1], s3, v38, v[26:27]
	global_store_dwordx4 v[24:25], v[20:23], off
	v_add_u32_e32 v24, 0x438, v37
	v_mad_u64_u32 v[22:23], s[0:1], s2, v24, 0
	v_mov_b32_e32 v36, v26
	v_lshlrev_b64 v[20:21], 4, v[35:36]
	v_mad_u64_u32 v[23:24], s[0:1], s3, v24, v[23:24]
	v_add_co_u32_e32 v20, vcc, v32, v20
	v_addc_co_u32_e32 v21, vcc, v33, v21, vcc
	v_add_u32_e32 v26, 0x654, v37
	v_mad_u64_u32 v[24:25], s[0:1], s2, v26, 0
	global_store_dwordx4 v[20:21], v[16:19], off
	s_nop 0
	v_lshlrev_b64 v[16:17], 4, v[22:23]
	v_mov_b32_e32 v18, v25
	v_add_co_u32_e32 v16, vcc, v32, v16
	v_addc_co_u32_e32 v17, vcc, v33, v17, vcc
	global_store_dwordx4 v[16:17], v[12:15], off
	v_add_u32_e32 v16, 0x870, v37
	v_mad_u64_u32 v[18:19], s[0:1], s3, v26, v[18:19]
	v_mad_u64_u32 v[14:15], s[0:1], s2, v16, 0
	v_mov_b32_e32 v25, v18
	v_add_u32_e32 v18, 0xa8c, v37
	v_mad_u64_u32 v[15:16], s[0:1], s3, v16, v[15:16]
	v_lshlrev_b64 v[12:13], 4, v[24:25]
	v_mad_u64_u32 v[16:17], s[0:1], s2, v18, 0
	v_add_co_u32_e32 v12, vcc, v32, v12
	v_addc_co_u32_e32 v13, vcc, v33, v13, vcc
	global_store_dwordx4 v[12:13], v[8:11], off
	s_nop 0
	v_mov_b32_e32 v10, v17
	v_mad_u64_u32 v[10:11], s[0:1], s3, v18, v[10:11]
	v_lshlrev_b64 v[8:9], 4, v[14:15]
	v_add_co_u32_e32 v8, vcc, v32, v8
	v_addc_co_u32_e32 v9, vcc, v33, v9, vcc
	v_mov_b32_e32 v17, v10
	global_store_dwordx4 v[8:9], v[4:7], off
	s_nop 0
	v_lshlrev_b64 v[4:5], 4, v[16:17]
	v_add_co_u32_e32 v4, vcc, v32, v4
	v_addc_co_u32_e32 v5, vcc, v33, v5, vcc
	global_store_dwordx4 v[4:5], v[0:3], off
.LBB0_15:
	s_endpgm
	.section	.rodata,"a",@progbits
	.p2align	6, 0x0
	.amdhsa_kernel fft_rtc_back_len3240_factors_3_3_10_6_6_wgs_108_tpt_108_halfLds_dp_ip_CI_sbrr_dirReg
		.amdhsa_group_segment_fixed_size 0
		.amdhsa_private_segment_fixed_size 0
		.amdhsa_kernarg_size 88
		.amdhsa_user_sgpr_count 6
		.amdhsa_user_sgpr_private_segment_buffer 1
		.amdhsa_user_sgpr_dispatch_ptr 0
		.amdhsa_user_sgpr_queue_ptr 0
		.amdhsa_user_sgpr_kernarg_segment_ptr 1
		.amdhsa_user_sgpr_dispatch_id 0
		.amdhsa_user_sgpr_flat_scratch_init 0
		.amdhsa_user_sgpr_private_segment_size 0
		.amdhsa_uses_dynamic_stack 0
		.amdhsa_system_sgpr_private_segment_wavefront_offset 0
		.amdhsa_system_sgpr_workgroup_id_x 1
		.amdhsa_system_sgpr_workgroup_id_y 0
		.amdhsa_system_sgpr_workgroup_id_z 0
		.amdhsa_system_sgpr_workgroup_info 0
		.amdhsa_system_vgpr_workitem_id 0
		.amdhsa_next_free_vgpr 249
		.amdhsa_next_free_sgpr 26
		.amdhsa_reserve_vcc 1
		.amdhsa_reserve_flat_scratch 0
		.amdhsa_float_round_mode_32 0
		.amdhsa_float_round_mode_16_64 0
		.amdhsa_float_denorm_mode_32 3
		.amdhsa_float_denorm_mode_16_64 3
		.amdhsa_dx10_clamp 1
		.amdhsa_ieee_mode 1
		.amdhsa_fp16_overflow 0
		.amdhsa_exception_fp_ieee_invalid_op 0
		.amdhsa_exception_fp_denorm_src 0
		.amdhsa_exception_fp_ieee_div_zero 0
		.amdhsa_exception_fp_ieee_overflow 0
		.amdhsa_exception_fp_ieee_underflow 0
		.amdhsa_exception_fp_ieee_inexact 0
		.amdhsa_exception_int_div_zero 0
	.end_amdhsa_kernel
	.text
.Lfunc_end0:
	.size	fft_rtc_back_len3240_factors_3_3_10_6_6_wgs_108_tpt_108_halfLds_dp_ip_CI_sbrr_dirReg, .Lfunc_end0-fft_rtc_back_len3240_factors_3_3_10_6_6_wgs_108_tpt_108_halfLds_dp_ip_CI_sbrr_dirReg
                                        ; -- End function
	.section	.AMDGPU.csdata,"",@progbits
; Kernel info:
; codeLenInByte = 22792
; NumSgprs: 30
; NumVgprs: 249
; ScratchSize: 0
; MemoryBound: 1
; FloatMode: 240
; IeeeMode: 1
; LDSByteSize: 0 bytes/workgroup (compile time only)
; SGPRBlocks: 3
; VGPRBlocks: 62
; NumSGPRsForWavesPerEU: 30
; NumVGPRsForWavesPerEU: 249
; Occupancy: 1
; WaveLimiterHint : 1
; COMPUTE_PGM_RSRC2:SCRATCH_EN: 0
; COMPUTE_PGM_RSRC2:USER_SGPR: 6
; COMPUTE_PGM_RSRC2:TRAP_HANDLER: 0
; COMPUTE_PGM_RSRC2:TGID_X_EN: 1
; COMPUTE_PGM_RSRC2:TGID_Y_EN: 0
; COMPUTE_PGM_RSRC2:TGID_Z_EN: 0
; COMPUTE_PGM_RSRC2:TIDIG_COMP_CNT: 0
	.type	__hip_cuid_69fce142e206dce3,@object ; @__hip_cuid_69fce142e206dce3
	.section	.bss,"aw",@nobits
	.globl	__hip_cuid_69fce142e206dce3
__hip_cuid_69fce142e206dce3:
	.byte	0                               ; 0x0
	.size	__hip_cuid_69fce142e206dce3, 1

	.ident	"AMD clang version 19.0.0git (https://github.com/RadeonOpenCompute/llvm-project roc-6.4.0 25133 c7fe45cf4b819c5991fe208aaa96edf142730f1d)"
	.section	".note.GNU-stack","",@progbits
	.addrsig
	.addrsig_sym __hip_cuid_69fce142e206dce3
	.amdgpu_metadata
---
amdhsa.kernels:
  - .args:
      - .actual_access:  read_only
        .address_space:  global
        .offset:         0
        .size:           8
        .value_kind:     global_buffer
      - .offset:         8
        .size:           8
        .value_kind:     by_value
      - .actual_access:  read_only
        .address_space:  global
        .offset:         16
        .size:           8
        .value_kind:     global_buffer
      - .actual_access:  read_only
        .address_space:  global
        .offset:         24
        .size:           8
        .value_kind:     global_buffer
      - .offset:         32
        .size:           8
        .value_kind:     by_value
      - .actual_access:  read_only
        .address_space:  global
        .offset:         40
        .size:           8
        .value_kind:     global_buffer
      - .actual_access:  read_only
        .address_space:  global
        .offset:         48
        .size:           8
        .value_kind:     global_buffer
      - .offset:         56
        .size:           4
        .value_kind:     by_value
      - .actual_access:  read_only
        .address_space:  global
        .offset:         64
        .size:           8
        .value_kind:     global_buffer
      - .actual_access:  read_only
        .address_space:  global
        .offset:         72
        .size:           8
        .value_kind:     global_buffer
      - .address_space:  global
        .offset:         80
        .size:           8
        .value_kind:     global_buffer
    .group_segment_fixed_size: 0
    .kernarg_segment_align: 8
    .kernarg_segment_size: 88
    .language:       OpenCL C
    .language_version:
      - 2
      - 0
    .max_flat_workgroup_size: 108
    .name:           fft_rtc_back_len3240_factors_3_3_10_6_6_wgs_108_tpt_108_halfLds_dp_ip_CI_sbrr_dirReg
    .private_segment_fixed_size: 0
    .sgpr_count:     30
    .sgpr_spill_count: 0
    .symbol:         fft_rtc_back_len3240_factors_3_3_10_6_6_wgs_108_tpt_108_halfLds_dp_ip_CI_sbrr_dirReg.kd
    .uniform_work_group_size: 1
    .uses_dynamic_stack: false
    .vgpr_count:     249
    .vgpr_spill_count: 0
    .wavefront_size: 64
amdhsa.target:   amdgcn-amd-amdhsa--gfx906
amdhsa.version:
  - 1
  - 2
...

	.end_amdgpu_metadata
